;; amdgpu-corpus repo=ROCm/rocFFT kind=compiled arch=gfx950 opt=O3
	.text
	.amdgcn_target "amdgcn-amd-amdhsa--gfx950"
	.amdhsa_code_object_version 6
	.protected	fft_rtc_fwd_len595_factors_7_17_5_wgs_51_tpt_17_halfLds_sp_op_CI_CI_unitstride_sbrr_dirReg ; -- Begin function fft_rtc_fwd_len595_factors_7_17_5_wgs_51_tpt_17_halfLds_sp_op_CI_CI_unitstride_sbrr_dirReg
	.globl	fft_rtc_fwd_len595_factors_7_17_5_wgs_51_tpt_17_halfLds_sp_op_CI_CI_unitstride_sbrr_dirReg
	.p2align	8
	.type	fft_rtc_fwd_len595_factors_7_17_5_wgs_51_tpt_17_halfLds_sp_op_CI_CI_unitstride_sbrr_dirReg,@function
fft_rtc_fwd_len595_factors_7_17_5_wgs_51_tpt_17_halfLds_sp_op_CI_CI_unitstride_sbrr_dirReg: ; @fft_rtc_fwd_len595_factors_7_17_5_wgs_51_tpt_17_halfLds_sp_op_CI_CI_unitstride_sbrr_dirReg
; %bb.0:
	s_load_dwordx4 s[8:11], s[0:1], 0x58
	s_load_dwordx4 s[4:7], s[0:1], 0x0
	;; [unrolled: 1-line block ×3, first 2 shown]
	v_mul_u32_u24_e32 v1, 0xf10, v0
	v_lshrrev_b32_e32 v2, 16, v1
	v_mad_u64_u32 v[16:17], s[2:3], s2, 3, v[2:3]
	v_mov_b32_e32 v2, 0
	v_mov_b32_e32 v17, v2
	s_waitcnt lgkmcnt(0)
	v_cmp_lt_u64_e64 s[2:3], s[6:7], 2
	v_mov_b64_e32 v[20:21], 0
	s_and_b64 vcc, exec, s[2:3]
	v_mov_b64_e32 v[8:9], v[20:21]
	v_mov_b64_e32 v[10:11], v[16:17]
	s_cbranch_vccnz .LBB0_8
; %bb.1:
	s_load_dwordx2 s[2:3], s[0:1], 0x10
	s_add_u32 s16, s14, 8
	s_addc_u32 s17, s15, 0
	s_add_u32 s18, s12, 8
	s_addc_u32 s19, s13, 0
	s_waitcnt lgkmcnt(0)
	s_add_u32 s20, s2, 8
	v_mov_b64_e32 v[20:21], 0
	s_addc_u32 s21, s3, 0
	s_mov_b64 s[22:23], 1
	v_mov_b64_e32 v[8:9], v[20:21]
	v_mov_b64_e32 v[4:5], v[16:17]
.LBB0_2:                                ; =>This Inner Loop Header: Depth=1
	s_load_dwordx2 s[24:25], s[20:21], 0x0
                                        ; implicit-def: $vgpr10_vgpr11
	s_waitcnt lgkmcnt(0)
	v_or_b32_e32 v3, s25, v5
	v_cmp_ne_u64_e32 vcc, 0, v[2:3]
	s_and_saveexec_b64 s[2:3], vcc
	s_xor_b64 s[26:27], exec, s[2:3]
	s_cbranch_execz .LBB0_4
; %bb.3:                                ;   in Loop: Header=BB0_2 Depth=1
	v_cvt_f32_u32_e32 v1, s24
	v_cvt_f32_u32_e32 v3, s25
	s_sub_u32 s2, 0, s24
	s_subb_u32 s3, 0, s25
	v_fmac_f32_e32 v1, 0x4f800000, v3
	v_rcp_f32_e32 v1, v1
	s_nop 0
	v_mul_f32_e32 v1, 0x5f7ffffc, v1
	v_mul_f32_e32 v3, 0x2f800000, v1
	v_trunc_f32_e32 v3, v3
	v_fmac_f32_e32 v1, 0xcf800000, v3
	v_cvt_u32_f32_e32 v3, v3
	v_cvt_u32_f32_e32 v1, v1
	v_mul_lo_u32 v6, s2, v3
	v_mul_hi_u32 v10, s2, v1
	v_mul_lo_u32 v7, s3, v1
	v_add_u32_e32 v10, v10, v6
	v_mul_lo_u32 v12, s2, v1
	v_add_u32_e32 v13, v10, v7
	v_mul_hi_u32 v6, v1, v12
	v_mul_hi_u32 v11, v1, v13
	v_mul_lo_u32 v10, v1, v13
	v_mov_b32_e32 v7, v2
	v_lshl_add_u64 v[6:7], v[6:7], 0, v[10:11]
	v_mul_hi_u32 v11, v3, v12
	v_mul_lo_u32 v12, v3, v12
	v_add_co_u32_e32 v6, vcc, v6, v12
	v_mul_hi_u32 v10, v3, v13
	s_nop 0
	v_addc_co_u32_e32 v6, vcc, v7, v11, vcc
	v_mov_b32_e32 v7, v2
	s_nop 0
	v_addc_co_u32_e32 v11, vcc, 0, v10, vcc
	v_mul_lo_u32 v10, v3, v13
	v_lshl_add_u64 v[6:7], v[6:7], 0, v[10:11]
	v_add_co_u32_e32 v1, vcc, v1, v6
	v_mul_lo_u32 v10, s2, v1
	s_nop 0
	v_addc_co_u32_e32 v3, vcc, v3, v7, vcc
	v_mul_lo_u32 v6, s2, v3
	v_mul_hi_u32 v7, s2, v1
	v_add_u32_e32 v6, v7, v6
	v_mul_lo_u32 v7, s3, v1
	v_add_u32_e32 v12, v6, v7
	v_mul_hi_u32 v14, v3, v10
	v_mul_lo_u32 v15, v3, v10
	v_mul_hi_u32 v7, v1, v12
	v_mul_lo_u32 v6, v1, v12
	v_mul_hi_u32 v10, v1, v10
	v_mov_b32_e32 v11, v2
	v_lshl_add_u64 v[6:7], v[10:11], 0, v[6:7]
	v_add_co_u32_e32 v6, vcc, v6, v15
	v_mul_hi_u32 v13, v3, v12
	s_nop 0
	v_addc_co_u32_e32 v6, vcc, v7, v14, vcc
	v_mul_lo_u32 v10, v3, v12
	s_nop 0
	v_addc_co_u32_e32 v11, vcc, 0, v13, vcc
	v_mov_b32_e32 v7, v2
	v_lshl_add_u64 v[6:7], v[6:7], 0, v[10:11]
	v_add_co_u32_e32 v1, vcc, v1, v6
	v_mul_hi_u32 v10, v4, v1
	s_nop 0
	v_addc_co_u32_e32 v3, vcc, v3, v7, vcc
	v_mad_u64_u32 v[6:7], s[2:3], v4, v3, 0
	v_mov_b32_e32 v11, v2
	v_lshl_add_u64 v[6:7], v[10:11], 0, v[6:7]
	v_mad_u64_u32 v[12:13], s[2:3], v5, v1, 0
	v_add_co_u32_e32 v1, vcc, v6, v12
	v_mad_u64_u32 v[10:11], s[2:3], v5, v3, 0
	s_nop 0
	v_addc_co_u32_e32 v6, vcc, v7, v13, vcc
	v_mov_b32_e32 v7, v2
	s_nop 0
	v_addc_co_u32_e32 v11, vcc, 0, v11, vcc
	v_lshl_add_u64 v[6:7], v[6:7], 0, v[10:11]
	v_mul_lo_u32 v1, s25, v6
	v_mul_lo_u32 v3, s24, v7
	v_mad_u64_u32 v[10:11], s[2:3], s24, v6, 0
	v_add3_u32 v1, v11, v3, v1
	v_sub_u32_e32 v3, v5, v1
	v_mov_b32_e32 v11, s25
	v_sub_co_u32_e32 v14, vcc, v4, v10
	v_lshl_add_u64 v[12:13], v[6:7], 0, 1
	s_nop 0
	v_subb_co_u32_e64 v3, s[2:3], v3, v11, vcc
	v_subrev_co_u32_e64 v10, s[2:3], s24, v14
	v_subb_co_u32_e32 v1, vcc, v5, v1, vcc
	s_nop 0
	v_subbrev_co_u32_e64 v3, s[2:3], 0, v3, s[2:3]
	v_cmp_le_u32_e64 s[2:3], s25, v3
	v_cmp_le_u32_e32 vcc, s25, v1
	s_nop 0
	v_cndmask_b32_e64 v11, 0, -1, s[2:3]
	v_cmp_le_u32_e64 s[2:3], s24, v10
	s_nop 1
	v_cndmask_b32_e64 v10, 0, -1, s[2:3]
	v_cmp_eq_u32_e64 s[2:3], s25, v3
	s_nop 1
	v_cndmask_b32_e64 v3, v11, v10, s[2:3]
	v_lshl_add_u64 v[10:11], v[6:7], 0, 2
	v_cmp_ne_u32_e64 s[2:3], 0, v3
	s_nop 1
	v_cndmask_b32_e64 v3, v13, v11, s[2:3]
	v_cndmask_b32_e64 v11, 0, -1, vcc
	v_cmp_le_u32_e32 vcc, s24, v14
	s_nop 1
	v_cndmask_b32_e64 v13, 0, -1, vcc
	v_cmp_eq_u32_e32 vcc, s25, v1
	s_nop 1
	v_cndmask_b32_e32 v1, v11, v13, vcc
	v_cmp_ne_u32_e32 vcc, 0, v1
	v_cndmask_b32_e64 v1, v12, v10, s[2:3]
	s_nop 0
	v_cndmask_b32_e32 v11, v7, v3, vcc
	v_cndmask_b32_e32 v10, v6, v1, vcc
.LBB0_4:                                ;   in Loop: Header=BB0_2 Depth=1
	s_andn2_saveexec_b64 s[2:3], s[26:27]
	s_cbranch_execz .LBB0_6
; %bb.5:                                ;   in Loop: Header=BB0_2 Depth=1
	v_cvt_f32_u32_e32 v1, s24
	s_sub_i32 s26, 0, s24
	v_mov_b32_e32 v11, v2
	v_rcp_iflag_f32_e32 v1, v1
	s_nop 0
	v_mul_f32_e32 v1, 0x4f7ffffe, v1
	v_cvt_u32_f32_e32 v1, v1
	v_mul_lo_u32 v3, s26, v1
	v_mul_hi_u32 v3, v1, v3
	v_add_u32_e32 v1, v1, v3
	v_mul_hi_u32 v1, v4, v1
	v_mul_lo_u32 v3, v1, s24
	v_sub_u32_e32 v3, v4, v3
	v_add_u32_e32 v6, 1, v1
	v_subrev_u32_e32 v7, s24, v3
	v_cmp_le_u32_e32 vcc, s24, v3
	s_nop 1
	v_cndmask_b32_e32 v3, v3, v7, vcc
	v_cndmask_b32_e32 v1, v1, v6, vcc
	v_add_u32_e32 v6, 1, v1
	v_cmp_le_u32_e32 vcc, s24, v3
	s_nop 1
	v_cndmask_b32_e32 v10, v1, v6, vcc
.LBB0_6:                                ;   in Loop: Header=BB0_2 Depth=1
	s_or_b64 exec, exec, s[2:3]
	v_mad_u64_u32 v[6:7], s[2:3], v10, s24, 0
	s_load_dwordx2 s[2:3], s[18:19], 0x0
	v_mul_lo_u32 v1, v11, s24
	v_mul_lo_u32 v3, v10, s25
	s_load_dwordx2 s[24:25], s[16:17], 0x0
	s_add_u32 s22, s22, 1
	v_add3_u32 v1, v7, v3, v1
	v_sub_co_u32_e32 v3, vcc, v4, v6
	s_addc_u32 s23, s23, 0
	s_nop 0
	v_subb_co_u32_e32 v1, vcc, v5, v1, vcc
	s_add_u32 s16, s16, 8
	s_waitcnt lgkmcnt(0)
	v_mul_lo_u32 v4, s2, v1
	v_mul_lo_u32 v5, s3, v3
	v_mad_u64_u32 v[20:21], s[2:3], s2, v3, v[20:21]
	s_addc_u32 s17, s17, 0
	v_add3_u32 v21, v5, v21, v4
	v_mul_lo_u32 v1, s24, v1
	v_mul_lo_u32 v4, s25, v3
	v_mad_u64_u32 v[8:9], s[2:3], s24, v3, v[8:9]
	s_add_u32 s18, s18, 8
	v_add3_u32 v9, v4, v9, v1
	s_addc_u32 s19, s19, 0
	v_mov_b64_e32 v[4:5], s[6:7]
	s_add_u32 s20, s20, 8
	v_cmp_ge_u64_e32 vcc, s[22:23], v[4:5]
	s_addc_u32 s21, s21, 0
	s_cbranch_vccnz .LBB0_8
; %bb.7:                                ;   in Loop: Header=BB0_2 Depth=1
	v_mov_b64_e32 v[4:5], v[10:11]
	s_branch .LBB0_2
.LBB0_8:
	s_load_dwordx2 s[0:1], s[0:1], 0x28
	s_lshl_b64 s[16:17], s[6:7], 3
	s_add_u32 s2, s14, s16
	s_addc_u32 s3, s15, s17
                                        ; implicit-def: $sgpr14_sgpr15
                                        ; implicit-def: $vgpr122
	s_waitcnt lgkmcnt(0)
	v_cmp_gt_u64_e32 vcc, s[0:1], v[10:11]
	v_cmp_le_u64_e64 s[0:1], s[0:1], v[10:11]
	s_and_saveexec_b64 s[6:7], s[0:1]
	s_xor_b64 s[0:1], exec, s[6:7]
; %bb.9:
	s_mov_b32 s6, 0xf0f0f10
	v_mul_hi_u32 v1, v0, s6
	v_mul_u32_u24_e32 v1, 17, v1
	v_sub_u32_e32 v122, v0, v1
	s_mov_b64 s[14:15], 0
                                        ; implicit-def: $vgpr0
                                        ; implicit-def: $vgpr20_vgpr21
; %bb.10:
	s_or_saveexec_b64 s[6:7], s[0:1]
	v_mov_b64_e32 v[82:83], s[14:15]
	v_mov_b64_e32 v[88:89], s[14:15]
	;; [unrolled: 1-line block ×20, first 2 shown]
                                        ; implicit-def: $vgpr100
                                        ; implicit-def: $vgpr102
                                        ; implicit-def: $vgpr104
                                        ; implicit-def: $vgpr64
                                        ; implicit-def: $vgpr60
                                        ; implicit-def: $vgpr72
                                        ; implicit-def: $vgpr54
                                        ; implicit-def: $vgpr42
                                        ; implicit-def: $vgpr40
                                        ; implicit-def: $vgpr38
                                        ; implicit-def: $vgpr58
                                        ; implicit-def: $vgpr50
                                        ; implicit-def: $vgpr98
                                        ; implicit-def: $vgpr96
                                        ; implicit-def: $vgpr94
	s_xor_b64 exec, exec, s[6:7]
	s_cbranch_execz .LBB0_12
; %bb.11:
	s_add_u32 s0, s12, s16
	s_addc_u32 s1, s13, s17
	s_load_dwordx2 s[0:1], s[0:1], 0x0
	s_mov_b32 s12, 0xf0f0f10
	s_waitcnt lgkmcnt(0)
	v_mul_lo_u32 v1, s1, v10
	v_mul_lo_u32 v4, s0, v11
	v_mad_u64_u32 v[2:3], s[0:1], s0, v10, 0
	v_add3_u32 v3, v3, v4, v1
	v_mul_hi_u32 v1, v0, s12
	v_mul_u32_u24_e32 v1, 17, v1
	v_sub_u32_e32 v122, v0, v1
	v_lshl_add_u64 v[0:1], v[2:3], 3, s[8:9]
	v_lshl_add_u64 v[0:1], v[20:21], 3, v[0:1]
	v_lshlrev_b32_e32 v2, 3, v122
	v_mov_b32_e32 v3, 0
	v_lshl_add_u64 v[20:21], v[0:1], 0, v[2:3]
	s_movk_i32 s0, 0x1000
	v_add_co_u32_e64 v22, s[0:1], s0, v20
	v_or_b32_e32 v2, 0x1100, v2
	s_nop 0
	v_addc_co_u32_e64 v23, s[0:1], 0, v21, s[0:1]
	global_load_dwordx2 v[46:47], v[20:21], off offset:952
	global_load_dwordx2 v[60:61], v[20:21], off offset:3672
	v_lshl_add_u64 v[0:1], v[0:1], 0, v[2:3]
	global_load_dwordx2 v[70:71], v[20:21], off
	global_load_dwordx2 v[56:57], v[20:21], off offset:136
	global_load_dwordx2 v[44:45], v[20:21], off offset:272
	;; [unrolled: 1-line block ×29, first 2 shown]
                                        ; kill: killed $vgpr20 killed $vgpr21
	global_load_dwordx2 v[58:59], v[22:23], off offset:392
	global_load_dwordx2 v[72:73], v[0:1], off
	global_load_dwordx2 v[42:43], v[22:23], off offset:528
.LBB0_12:
	s_or_b64 exec, exec, s[6:7]
	s_mov_b32 s0, 0xaaaaaaab
	v_mul_hi_u32 v0, v16, s0
	v_lshrrev_b32_e32 v0, 1, v0
	v_lshl_add_u32 v0, v0, 1, v0
	v_sub_u32_e32 v28, v16, v0
	s_waitcnt vmcnt(2)
	v_add_f32_e32 v17, v58, v18
	v_add_f32_e32 v0, v50, v34
	;; [unrolled: 1-line block ×4, first 2 shown]
	v_sub_f32_e32 v29, v0, v17
	v_pk_add_f32 v[20:21], v[16:17], v[0:1] neg_lo:[0,1] neg_hi:[0,1]
	v_pk_add_f32 v[0:1], v[16:17], v[0:1] op_sel_hi:[0,1]
	s_mov_b32 s6, 0x3d64c772
	v_mov_b32_e32 v21, v1
	s_mov_b32 s7, 0x3f955555
	v_sub_f32_e32 v22, v17, v16
	v_add_f32_e32 v1, v1, v12
	s_mov_b32 s12, 0x3f3bfb3b
	v_pk_mul_f32 v[16:17], v[20:21], s[6:7]
	v_sub_f32_e32 v12, v35, v51
	v_sub_f32_e32 v31, v37, v55
	v_mul_f32_e32 v0, 0x3f4a47b2, v22
	v_fma_f32 v17, v29, s12, -v16
	v_sub_f32_e32 v30, v19, v59
	v_add_f32_e32 v16, v12, v31
	v_sub_f32_e32 v22, v31, v12
	s_mov_b32 s13, 0x3f5ff5aa
	v_sub_f32_e32 v32, v12, v30
	v_add_f32_e32 v33, v30, v16
	v_mul_f32_e32 v16, 0xbf08b237, v22
	v_fma_f32 v12, v32, s13, -v16
	v_pk_fma_f32 v[22:23], v[20:21], s[6:7], v[0:1] neg_lo:[1,0,0] neg_hi:[1,0,0]
	v_fmac_f32_e32 v12, 0x3ee1c552, v33
	v_add_f32_e32 v22, v17, v23
	v_pk_add_f32 v[24:25], v[22:23], v[12:13] neg_lo:[0,1] neg_hi:[0,1]
	v_pk_add_f32 v[26:27], v[22:23], v[12:13]
	v_mul_u32_u24_e32 v12, 0x253, v28
	v_lshlrev_b32_e32 v123, 2, v12
	v_add_u32_e32 v126, 0, v123
	v_mad_u32_u24 v127, v122, 28, v126
	v_add_u32_e32 v12, 0x5a0, v127
	s_mov_b32 s14, 0xbf3bfb3b
	v_pk_fma_f32 v[20:21], v[20:21], s[6:7], v[0:1]
	ds_write2_b32 v12, v24, v26 offset1:1
	v_mov_b32_e32 v21, v23
	v_mov_b32_e32 v22, v23
	v_fma_f32 v23, v29, s14, -v0
	v_sub_f32_e32 v0, v30, v31
	s_mov_b32 s15, 0xbeae86e6
	v_mul_f32_e32 v12, 0x3f5ff5aa, v32
	v_fma_f32 v17, v0, s15, -v12
	v_fmac_f32_e32 v16, 0x3eae86e6, v0
	v_mul_f32_e32 v0, 0x3ee1c552, v33
	v_pk_add_f32 v[20:21], v[20:21], v[22:23]
	v_pk_add_f32 v[16:17], v[16:17], v[0:1] op_sel_hi:[1,0]
	v_add_u32_e32 v12, 0x5a8, v127
	v_pk_add_f32 v[22:23], v[20:21], v[16:17] neg_lo:[0,1] neg_hi:[0,1]
	ds_write2_b32 v12, v23, v22 offset1:1
	v_add_f32_e32 v12, v104, v82
	v_add_f32_e32 v22, v102, v88
	;; [unrolled: 1-line block ×4, first 2 shown]
	v_sub_f32_e32 v74, v22, v12
	v_pk_add_f32 v[24:25], v[0:1], v[22:23] neg_lo:[0,1] neg_hi:[0,1]
	v_pk_add_f32 v[22:23], v[0:1], v[22:23] op_sel_hi:[0,1]
	v_sub_f32_e32 v26, v12, v0
	v_mov_b32_e32 v25, v23
	v_mul_f32_e32 v22, 0x3f4a47b2, v26
	v_pk_mul_f32 v[26:27], v[24:25], s[6:7]
	v_sub_f32_e32 v0, v89, v103
	v_sub_f32_e32 v75, v77, v101
	v_add_f32_e32 v23, v23, v70
	v_fma_f32 v12, v74, s12, -v26
	v_sub_f32_e32 v70, v83, v105
	v_add_f32_e32 v26, v0, v75
	v_sub_f32_e32 v27, v75, v0
	v_sub_f32_e32 v78, v0, v70
	v_add_f32_e32 v79, v70, v26
	v_mul_f32_e32 v26, 0xbf08b237, v27
	v_fma_f32 v0, v78, s13, -v26
	v_pk_fma_f32 v[28:29], v[24:25], s[6:7], v[22:23] neg_lo:[1,0,0] neg_hi:[1,0,0]
	v_fmac_f32_e32 v0, 0x3ee1c552, v79
	v_add_f32_e32 v12, v12, v29
	v_pk_add_f32 v[30:31], v[12:13], v[0:1] neg_lo:[0,1] neg_hi:[0,1]
	v_pk_add_f32 v[32:33], v[12:13], v[0:1]
	v_pk_fma_f32 v[24:25], v[24:25], s[6:7], v[22:23]
	v_sub_f32_e32 v0, v70, v75
	v_mul_f32_e32 v12, 0x3f5ff5aa, v78
	v_mov_b32_e32 v25, v29
	v_mov_b32_e32 v28, v29
	v_fma_f32 v29, v74, s14, -v22
	v_fma_f32 v27, v0, s15, -v12
	v_fmac_f32_e32 v26, 0x3eae86e6, v0
	v_mul_f32_e32 v0, 0x3ee1c552, v79
	v_pk_add_f32 v[24:25], v[24:25], v[28:29]
	v_pk_add_f32 v[26:27], v[26:27], v[0:1] op_sel_hi:[1,0]
	v_add_f32_e32 v12, v98, v66
	v_pk_add_f32 v[28:29], v[24:25], v[26:27] neg_lo:[0,1] neg_hi:[0,1]
	ds_write2_b32 v127, v29, v28 offset0:5 offset1:6
	v_add_f32_e32 v28, v96, v68
	v_add_f32_e32 v29, v12, v28
	;; [unrolled: 1-line block ×3, first 2 shown]
	ds_write2_b32 v127, v30, v32 offset0:3 offset1:4
	v_sub_f32_e32 v70, v28, v12
	v_pk_add_f32 v[30:31], v[0:1], v[28:29] neg_lo:[0,1] neg_hi:[0,1]
	v_pk_add_f32 v[28:29], v[0:1], v[28:29] op_sel_hi:[0,1]
	v_mov_b32_e32 v31, v29
	v_sub_f32_e32 v22, v12, v0
	v_pk_mul_f32 v[32:33], v[30:31], s[6:7]
	v_sub_f32_e32 v0, v69, v97
	v_sub_f32_e32 v80, v63, v95
	v_add_f32_e32 v29, v29, v56
	v_mul_f32_e32 v28, 0x3f4a47b2, v22
	v_fma_f32 v12, v70, s12, -v32
	v_sub_f32_e32 v56, v67, v99
	v_add_f32_e32 v22, v0, v80
	v_sub_f32_e32 v32, v80, v0
	v_sub_f32_e32 v81, v0, v56
	v_add_f32_e32 v84, v56, v22
	v_mul_f32_e32 v22, 0xbf08b237, v32
	v_fma_f32 v0, v81, s13, -v22
	v_pk_fma_f32 v[32:33], v[30:31], s[6:7], v[28:29] neg_lo:[1,0,0] neg_hi:[1,0,0]
	v_fmac_f32_e32 v0, 0x3ee1c552, v84
	v_add_f32_e32 v12, v12, v33
	v_pk_add_f32 v[74:75], v[12:13], v[0:1] neg_lo:[0,1] neg_hi:[0,1]
	v_pk_add_f32 v[78:79], v[12:13], v[0:1]
	v_pk_fma_f32 v[30:31], v[30:31], s[6:7], v[28:29]
	v_sub_f32_e32 v0, v56, v80
	v_mul_f32_e32 v12, 0x3f5ff5aa, v81
	ds_write2_b32 v127, v74, v78 offset0:122 offset1:123
	ds_write2_b32 v127, v23, v29 offset1:119
	v_fma_f32 v29, v70, s14, -v28
	v_mov_b32_e32 v31, v33
	v_mov_b32_e32 v28, v33
	v_fma_f32 v23, v0, s15, -v12
	v_fmac_f32_e32 v22, 0x3eae86e6, v0
	v_mul_f32_e32 v0, 0x3ee1c552, v84
	v_pk_add_f32 v[28:29], v[30:31], v[28:29]
	v_pk_add_f32 v[22:23], v[22:23], v[0:1] op_sel_hi:[1,0]
	s_waitcnt vmcnt(1)
	v_add_f32_e32 v12, v72, v46
	v_pk_add_f32 v[30:31], v[28:29], v[22:23] neg_lo:[0,1] neg_hi:[0,1]
	ds_write2_b32 v127, v31, v30 offset0:124 offset1:125
	v_add_f32_e32 v30, v60, v48
	v_add_f32_e32 v31, v12, v30
	;; [unrolled: 1-line block ×3, first 2 shown]
	v_sub_f32_e32 v70, v30, v12
	v_pk_add_f32 v[32:33], v[0:1], v[30:31] neg_lo:[0,1] neg_hi:[0,1]
	v_pk_add_f32 v[30:31], v[0:1], v[30:31] op_sel_hi:[0,1]
	v_mov_b32_e32 v33, v31
	v_sub_f32_e32 v56, v12, v0
	v_pk_mul_f32 v[74:75], v[32:33], s[6:7]
	v_sub_f32_e32 v0, v49, v61
	v_sub_f32_e32 v84, v53, v65
	v_add_f32_e32 v31, v31, v44
	v_mul_f32_e32 v30, 0x3f4a47b2, v56
	v_fma_f32 v44, v70, s12, -v74
	v_sub_f32_e32 v56, v47, v73
	v_sub_f32_e32 v74, v84, v0
	v_add_f32_e32 v12, v0, v84
	v_sub_f32_e32 v85, v0, v56
	v_mul_f32_e32 v0, 0xbf08b237, v74
	v_add_f32_e32 v86, v56, v12
	v_fma_f32 v12, v85, s13, -v0
	v_pk_fma_f32 v[74:75], v[32:33], s[6:7], v[30:31] neg_lo:[1,0,0] neg_hi:[1,0,0]
	v_fmac_f32_e32 v12, 0x3ee1c552, v86
	v_add_f32_e32 v44, v44, v75
	v_pk_add_f32 v[78:79], v[44:45], v[12:13] neg_lo:[0,1] neg_hi:[0,1]
	v_pk_add_f32 v[80:81], v[44:45], v[12:13]
	v_add_u32_e32 v12, 0x200, v127
	ds_write2_b32 v12, v31, v1 offset0:110 offset1:229
	v_pk_fma_f32 v[32:33], v[32:33], s[6:7], v[30:31]
	v_sub_f32_e32 v12, v56, v84
	v_mul_f32_e32 v1, 0x3f5ff5aa, v85
	v_fma_f32 v31, v70, s14, -v30
	v_mov_b32_e32 v33, v75
	v_mov_b32_e32 v30, v75
	v_fma_f32 v1, v12, s15, -v1
	v_fmac_f32_e32 v0, 0x3eae86e6, v12
	v_mul_f32_e32 v12, 0x3ee1c552, v86
	v_pk_add_f32 v[30:31], v[32:33], v[30:31]
	v_pk_add_f32 v[0:1], v[0:1], v[12:13] op_sel_hi:[1,0]
	v_pk_add_f32 v[16:17], v[20:21], v[16:17]
	v_pk_add_f32 v[32:33], v[30:31], v[0:1] neg_lo:[0,1] neg_hi:[0,1]
	v_pk_add_f32 v[0:1], v[30:31], v[0:1]
	v_mov_b32_e32 v12, v33
	ds_write2_b32 v127, v12, v32 offset0:243 offset1:244
	v_add_u32_e32 v12, 0x598, v127
	ds_write2_b32 v12, v16, v17 offset1:1
	v_pk_add_f32 v[16:17], v[24:25], v[26:27]
	ds_write2_b32 v127, v16, v17 offset0:1 offset1:2
	v_pk_add_f32 v[16:17], v[28:29], v[22:23]
	ds_write2_b32 v127, v16, v17 offset0:120 offset1:121
	ds_write2_b32 v127, v0, v1 offset0:239 offset1:240
	s_waitcnt vmcnt(0)
	v_add_f32_e32 v16, v42, v4
	v_add_f32_e32 v0, v40, v6
	;; [unrolled: 1-line block ×4, first 2 shown]
	v_sub_f32_e32 v20, v16, v12
	v_sub_f32_e32 v28, v0, v16
	v_pk_add_f32 v[16:17], v[12:13], v[0:1] neg_lo:[0,1] neg_hi:[0,1]
	v_pk_add_f32 v[0:1], v[12:13], v[0:1] op_sel_hi:[0,1]
	v_mov_b32_e32 v17, v1
	v_add_f32_e32 v1, v1, v2
	v_mul_f32_e32 v0, 0x3f4a47b2, v20
	v_pk_mul_f32 v[20:21], v[16:17], s[6:7]
	v_sub_f32_e32 v2, v7, v41
	v_sub_f32_e32 v30, v15, v39
	v_fma_f32 v12, v28, s12, -v20
	v_sub_f32_e32 v29, v5, v43
	v_add_f32_e32 v20, v2, v30
	v_sub_f32_e32 v21, v30, v2
	v_mov_b32_e32 v33, v32
	v_sub_f32_e32 v31, v2, v29
	v_add_f32_e32 v32, v29, v20
	v_mul_f32_e32 v20, 0xbf08b237, v21
	v_fma_f32 v2, v31, s13, -v20
	v_pk_fma_f32 v[22:23], v[16:17], s[6:7], v[0:1] neg_lo:[1,0,0] neg_hi:[1,0,0]
	v_fmac_f32_e32 v2, 0x3ee1c552, v32
	v_add_f32_e32 v12, v12, v23
	v_pk_add_f32 v[24:25], v[12:13], v[2:3] neg_lo:[0,1] neg_hi:[0,1]
	v_pk_add_f32 v[26:27], v[12:13], v[2:3]
	v_add_u32_e32 v2, 0x77c, v127
	ds_write2_b32 v127, v78, v80 offset0:241 offset1:242
	ds_write_b32 v127, v1 offset:1904
	ds_write2_b32 v2, v24, v26 offset1:1
	v_pk_fma_f32 v[16:17], v[16:17], s[6:7], v[0:1]
	v_sub_f32_e32 v2, v29, v30
	v_mul_f32_e32 v12, 0x3f5ff5aa, v31
	v_fma_f32 v1, v28, s14, -v0
	v_mov_b32_e32 v17, v23
	v_mov_b32_e32 v0, v23
	v_fma_f32 v21, v2, s15, -v12
	v_fmac_f32_e32 v20, 0x3eae86e6, v2
	v_mul_f32_e32 v2, 0x3ee1c552, v32
	v_pk_add_f32 v[0:1], v[16:17], v[0:1]
	v_pk_add_f32 v[20:21], v[20:21], v[2:3] op_sel_hi:[1,0]
	v_add_u32_e32 v12, 0x784, v127
	v_pk_add_f32 v[16:17], v[0:1], v[20:21] neg_lo:[0,1] neg_hi:[0,1]
	v_pk_add_f32 v[0:1], v[0:1], v[20:21]
	v_mov_b32_e32 v2, v17
	ds_write2_b32 v12, v2, v16 offset1:1
	v_lshlrev_b32_e32 v12, 2, v122
	v_add_u32_e32 v2, 0x774, v127
	v_add_u32_e32 v124, v126, v12
	v_add3_u32 v125, 0, v12, v123
	ds_write2_b32 v2, v0, v1 offset1:1
	s_load_dwordx2 s[2:3], s[2:3], 0x0
	s_waitcnt lgkmcnt(0)
	; wave barrier
	s_waitcnt lgkmcnt(0)
	v_add_u32_e32 v2, 0x400, v125
	v_add_u32_e32 v44, 0x600, v125
	;; [unrolled: 1-line block ×3, first 2 shown]
	ds_read_b32 v136, v124
	ds_read_b32 v132, v125 offset:2308
	ds_read2_b32 v[20:21], v125 offset0:17 offset1:35
	ds_read2_b32 v[120:121], v125 offset0:52 offset1:70
	;; [unrolled: 1-line block ×16, first 2 shown]
	v_mov_b32_e32 v17, v16
	v_cmp_eq_u32_e64 s[0:1], 0, v122
	v_add_u32_e32 v131, 0x1dc, v127
	v_add_u32_e32 v130, 0x3b8, v127
	;; [unrolled: 1-line block ×4, first 2 shown]
                                        ; implicit-def: $vgpr133
                                        ; implicit-def: $vgpr32
                                        ; implicit-def: $vgpr30
                                        ; implicit-def: $vgpr0
                                        ; implicit-def: $vgpr28
                                        ; implicit-def: $vgpr23
                                        ; implicit-def: $vgpr25
                                        ; implicit-def: $vgpr27
	s_and_saveexec_b64 s[8:9], s[0:1]
	s_cbranch_execz .LBB0_14
; %bb.13:
	v_add_u32_e32 v0, 0x200, v126
	v_add_u32_e32 v22, 0x400, v126
	ds_read2_b32 v[16:17], v126 offset0:34 offset1:69
	ds_read2_b32 v[32:33], v126 offset0:104 offset1:139
	;; [unrolled: 1-line block ×7, first 2 shown]
	v_add_u32_e32 v22, 0x800, v126
	ds_read2_b32 v[22:23], v22 offset0:12 offset1:47
	ds_read_b32 v133, v126 offset:2376
.LBB0_14:
	s_or_b64 exec, exec, s[8:9]
	v_add_f32_e32 v70, v105, v83
	v_sub_f32_e32 v104, v82, v104
	v_add_f32_e32 v82, v103, v89
	v_sub_f32_e32 v89, v88, v102
	v_add_f32_e32 v88, v101, v77
	v_sub_f32_e32 v76, v76, v100
	v_add_f32_e32 v83, v70, v82
	v_sub_f32_e32 v77, v82, v70
	v_sub_f32_e32 v70, v70, v88
	v_add_f32_e32 v100, v89, v76
	v_sub_f32_e32 v101, v76, v89
	v_sub_f32_e32 v103, v104, v76
	;; [unrolled: 1-line block ×3, first 2 shown]
	v_add_f32_e32 v104, v104, v100
	v_mul_f32_e32 v70, 0x3f4a47b2, v70
	v_mul_f32_e32 v100, 0xbf08b237, v101
	;; [unrolled: 1-line block ×3, first 2 shown]
	v_fma_f32 v89, v77, s14, -v70
	v_fma_f32 v102, v102, s13, -v100
	v_mul_f32_e32 v76, 0x3ee1c552, v104
	v_fmac_f32_e32 v102, 0x3ee1c552, v104
	v_pk_add_f32 v[104:105], v[88:89], v[82:83] neg_lo:[0,1] neg_hi:[0,1]
	v_pk_add_f32 v[82:83], v[88:89], v[82:83] op_sel_hi:[0,1]
	v_mov_b32_e32 v105, v83
	v_add_f32_e32 v71, v83, v71
	v_pk_mul_f32 v[82:83], v[104:105], s[6:7]
	v_pk_fma_f32 v[134:135], v[104:105], s[6:7], v[70:71]
	v_pk_fma_f32 v[104:105], v[104:105], s[6:7], v[70:71] neg_lo:[1,0,0] neg_hi:[1,0,0]
	v_fmac_f32_e32 v100, 0x3eae86e6, v103
	v_fma_f32 v101, v103, s15, -v101
	v_mov_b32_e32 v135, v105
	v_fma_f32 v70, v77, s12, -v82
	v_mov_b32_e32 v88, v105
	v_add_f32_e32 v70, v70, v105
	v_pk_add_f32 v[82:83], v[134:135], v[88:89]
	v_pk_add_f32 v[76:77], v[100:101], v[76:77] op_sel_hi:[1,0]
	v_pk_add_f32 v[100:101], v[70:71], v[102:103]
	v_pk_add_f32 v[88:89], v[82:83], v[76:77] neg_lo:[0,1] neg_hi:[0,1]
	v_pk_add_f32 v[102:103], v[70:71], v[102:103] neg_lo:[0,1] neg_hi:[0,1]
	v_pk_add_f32 v[76:77], v[76:77], v[82:83]
	v_add_f32_e32 v70, v99, v67
	v_sub_f32_e32 v82, v66, v98
	v_add_f32_e32 v66, v97, v69
	v_sub_f32_e32 v69, v68, v96
	;; [unrolled: 2-line block ×4, first 2 shown]
	v_sub_f32_e32 v63, v70, v68
	v_add_f32_e32 v70, v69, v62
	v_sub_f32_e32 v83, v62, v69
	v_sub_f32_e32 v96, v82, v62
	;; [unrolled: 1-line block ×3, first 2 shown]
	v_add_f32_e32 v97, v82, v70
	v_mul_f32_e32 v62, 0x3f4a47b2, v63
	v_mul_f32_e32 v82, 0xbf08b237, v83
	;; [unrolled: 1-line block ×3, first 2 shown]
	v_fma_f32 v69, v95, s14, -v62
	v_fma_f32 v94, v94, s13, -v82
	v_mul_f32_e32 v70, 0x3ee1c552, v97
	v_fmac_f32_e32 v82, 0x3eae86e6, v96
	v_fma_f32 v83, v96, s15, -v63
	v_fmac_f32_e32 v94, 0x3ee1c552, v97
	v_pk_add_f32 v[96:97], v[68:69], v[66:67] neg_lo:[0,1] neg_hi:[0,1]
	v_pk_add_f32 v[66:67], v[68:69], v[66:67] op_sel_hi:[0,1]
	v_mov_b32_e32 v97, v67
	v_add_f32_e32 v63, v67, v57
	v_pk_mul_f32 v[66:67], v[96:97], s[6:7]
	v_pk_fma_f32 v[98:99], v[96:97], s[6:7], v[62:63]
	v_pk_fma_f32 v[96:97], v[96:97], s[6:7], v[62:63] neg_lo:[1,0,0] neg_hi:[1,0,0]
	v_fma_f32 v57, v95, s12, -v66
	v_add_f32_e32 v62, v57, v97
	v_mov_b32_e32 v99, v97
	v_mov_b32_e32 v68, v97
	v_pk_add_f32 v[96:97], v[62:63], v[94:95]
	v_pk_add_f32 v[94:95], v[62:63], v[94:95] neg_lo:[0,1] neg_hi:[0,1]
	v_add_f32_e32 v57, v73, v47
	v_sub_f32_e32 v62, v46, v72
	v_add_f32_e32 v46, v61, v49
	v_sub_f32_e32 v49, v48, v60
	;; [unrolled: 2-line block ×3, first 2 shown]
	v_sub_f32_e32 v53, v57, v48
	v_pk_add_f32 v[66:67], v[98:99], v[68:69]
	v_pk_add_f32 v[68:69], v[82:83], v[70:71] op_sel_hi:[1,0]
	v_add_f32_e32 v47, v57, v46
	v_sub_f32_e32 v61, v46, v57
	v_add_f32_e32 v57, v49, v52
	v_sub_f32_e32 v64, v52, v49
	v_sub_f32_e32 v65, v62, v52
	v_mul_f32_e32 v52, 0x3f4a47b2, v53
	v_pk_add_f32 v[82:83], v[66:67], v[68:69] neg_lo:[0,1] neg_hi:[0,1]
	v_pk_add_f32 v[66:67], v[68:69], v[66:67]
	v_sub_f32_e32 v68, v49, v62
	v_mul_f32_e32 v64, 0xbf08b237, v64
	v_fma_f32 v49, v61, s14, -v52
	v_add_f32_e32 v57, v62, v57
	v_mul_f32_e32 v53, 0x3f5ff5aa, v68
	v_fma_f32 v62, v68, s13, -v64
	v_pk_add_f32 v[68:69], v[48:49], v[46:47] neg_lo:[0,1] neg_hi:[0,1]
	v_pk_add_f32 v[46:47], v[48:49], v[46:47] op_sel_hi:[0,1]
	v_mov_b32_e32 v69, v47
	v_fmac_f32_e32 v64, 0x3eae86e6, v65
	v_fma_f32 v65, v65, s15, -v53
	v_add_f32_e32 v53, v47, v45
	v_pk_mul_f32 v[46:47], v[68:69], s[6:7]
	v_pk_fma_f32 v[72:73], v[68:69], s[6:7], v[52:53]
	v_pk_fma_f32 v[68:69], v[68:69], s[6:7], v[52:53] neg_lo:[1,0,0] neg_hi:[1,0,0]
	v_fma_f32 v45, v61, s12, -v46
	v_fmac_f32_e32 v62, 0x3ee1c552, v57
	v_add_f32_e32 v46, v45, v69
	v_mov_b32_e32 v73, v69
	v_mov_b32_e32 v48, v69
	v_pk_add_f32 v[68:69], v[46:47], v[62:63]
	v_pk_add_f32 v[46:47], v[46:47], v[62:63] neg_lo:[0,1] neg_hi:[0,1]
	v_add_f32_e32 v45, v59, v19
	v_sub_f32_e32 v47, v18, v58
	v_add_f32_e32 v18, v51, v35
	v_sub_f32_e32 v35, v34, v50
	;; [unrolled: 2-line block ×3, first 2 shown]
	v_sub_f32_e32 v37, v45, v34
	v_add_f32_e32 v19, v45, v18
	v_sub_f32_e32 v51, v18, v45
	v_add_f32_e32 v45, v35, v36
	v_sub_f32_e32 v52, v36, v35
	v_sub_f32_e32 v55, v47, v36
	v_mul_f32_e32 v36, 0x3f4a47b2, v37
	v_mul_f32_e32 v60, 0x3ee1c552, v57
	v_sub_f32_e32 v57, v35, v47
	v_fma_f32 v35, v51, s14, -v36
	v_pk_add_f32 v[58:59], v[34:35], v[18:19] neg_lo:[0,1] neg_hi:[0,1]
	v_pk_add_f32 v[18:19], v[34:35], v[18:19] op_sel_hi:[0,1]
	v_mul_f32_e32 v54, 0xbf08b237, v52
	v_mul_f32_e32 v37, 0x3f5ff5aa, v57
	v_mov_b32_e32 v59, v19
	v_pk_add_f32 v[48:49], v[72:73], v[48:49]
	v_pk_add_f32 v[60:61], v[64:65], v[60:61] op_sel_hi:[1,0]
	v_fma_f32 v52, v57, s13, -v54
	v_fmac_f32_e32 v54, 0x3eae86e6, v55
	v_fma_f32 v55, v55, s15, -v37
	v_add_f32_e32 v37, v19, v13
	v_pk_mul_f32 v[18:19], v[58:59], s[6:7]
	v_pk_add_f32 v[64:65], v[48:49], v[60:61] neg_lo:[0,1] neg_hi:[0,1]
	v_pk_add_f32 v[48:49], v[60:61], v[48:49]
	v_add_f32_e32 v45, v47, v45
	v_pk_fma_f32 v[60:61], v[58:59], s[6:7], v[36:37]
	v_pk_fma_f32 v[58:59], v[58:59], s[6:7], v[36:37] neg_lo:[1,0,0] neg_hi:[1,0,0]
	v_fma_f32 v13, v51, s12, -v18
	v_fmac_f32_e32 v52, 0x3ee1c552, v45
	v_add_f32_e32 v18, v13, v59
	v_mov_b32_e32 v61, v59
	v_mov_b32_e32 v34, v59
	v_pk_add_f32 v[58:59], v[18:19], v[52:53]
	v_pk_add_f32 v[18:19], v[18:19], v[52:53] neg_lo:[0,1] neg_hi:[0,1]
	v_add_f32_e32 v13, v43, v5
	v_sub_f32_e32 v19, v4, v42
	v_add_f32_e32 v4, v41, v7
	v_sub_f32_e32 v7, v6, v40
	v_add_f32_e32 v6, v39, v15
	v_sub_f32_e32 v14, v14, v38
	v_add_f32_e32 v5, v13, v4
	v_sub_f32_e32 v15, v4, v13
	v_sub_f32_e32 v13, v13, v6
	v_sub_f32_e32 v39, v14, v7
	v_mul_f32_e32 v38, 0x3f4a47b2, v13
	v_add_f32_e32 v36, v7, v14
	v_sub_f32_e32 v42, v7, v19
	v_mul_f32_e32 v40, 0xbf08b237, v39
	v_fma_f32 v7, v15, s14, -v38
	v_mul_f32_e32 v50, 0x3ee1c552, v45
	v_sub_f32_e32 v41, v19, v14
	v_add_f32_e32 v19, v19, v36
	v_mul_f32_e32 v13, 0x3f5ff5aa, v42
	v_fma_f32 v36, v42, s13, -v40
	v_pk_add_f32 v[42:43], v[6:7], v[4:5] neg_lo:[0,1] neg_hi:[0,1]
	v_pk_add_f32 v[4:5], v[6:7], v[4:5] op_sel_hi:[0,1]
	v_pk_add_f32 v[34:35], v[60:61], v[34:35]
	v_pk_add_f32 v[50:51], v[54:55], v[50:51] op_sel_hi:[1,0]
	v_mov_b32_e32 v43, v5
	v_add_f32_e32 v39, v5, v3
	v_pk_add_f32 v[54:55], v[34:35], v[50:51] neg_lo:[0,1] neg_hi:[0,1]
	v_pk_add_f32 v[34:35], v[50:51], v[34:35]
	v_pk_mul_f32 v[4:5], v[42:43], s[6:7]
	v_pk_fma_f32 v[50:51], v[42:43], s[6:7], v[38:39]
	v_pk_fma_f32 v[42:43], v[42:43], s[6:7], v[38:39] neg_lo:[1,0,0] neg_hi:[1,0,0]
	v_mul_f32_e32 v14, 0x3ee1c552, v19
	v_fmac_f32_e32 v40, 0x3eae86e6, v41
	v_fma_f32 v41, v41, s15, -v13
	v_mov_b32_e32 v51, v43
	v_fma_f32 v3, v15, s12, -v4
	v_mov_b32_e32 v6, v43
	v_fmac_f32_e32 v36, 0x3ee1c552, v19
	v_add_f32_e32 v4, v3, v43
	v_pk_add_f32 v[6:7], v[50:51], v[6:7]
	v_pk_add_f32 v[14:15], v[40:41], v[14:15] op_sel_hi:[1,0]
	v_pk_add_f32 v[42:43], v[4:5], v[36:37]
	v_pk_add_f32 v[40:41], v[6:7], v[14:15] neg_lo:[0,1] neg_hi:[0,1]
	v_pk_add_f32 v[14:15], v[14:15], v[6:7]
	v_pk_add_f32 v[4:5], v[4:5], v[36:37] neg_lo:[0,1] neg_hi:[0,1]
	s_waitcnt lgkmcnt(0)
	; wave barrier
	s_waitcnt lgkmcnt(0)
	ds_write_b32 v127, v71
	ds_write2_b32 v127, v88, v89 offset0:1 offset1:2
	ds_write2_b32 v127, v100, v102 offset0:3 offset1:4
	ds_write2_b32 v127, v77, v76 offset0:5 offset1:6
	ds_write_b32 v131, v63
	ds_write2_b32 v131, v82, v83 offset0:1 offset1:2
	ds_write2_b32 v131, v96, v94 offset0:3 offset1:4
	ds_write2_b32 v131, v67, v66 offset0:5 offset1:6
	;; [unrolled: 4-line block ×5, first 2 shown]
	s_waitcnt lgkmcnt(0)
	; wave barrier
	s_waitcnt lgkmcnt(0)
	ds_read2_b32 v[18:19], v125 offset0:17 offset1:35
	ds_read2_b32 v[70:71], v125 offset0:52 offset1:70
	;; [unrolled: 1-line block ×16, first 2 shown]
	ds_read_b32 v94, v124
	ds_read_b32 v140, v125 offset:2308
	v_mov_b32_e32 v3, v14
                                        ; implicit-def: $vgpr6
                                        ; implicit-def: $vgpr4
                                        ; implicit-def: $vgpr2
                                        ; implicit-def: $vgpr40
                                        ; implicit-def: $vgpr139
                                        ; implicit-def: $vgpr35
                                        ; implicit-def: $vgpr37
                                        ; implicit-def: $vgpr39
	s_and_saveexec_b64 s[6:7], s[0:1]
	s_cbranch_execz .LBB0_16
; %bb.15:
	v_add_u32_e32 v2, 0x200, v126
	v_add_u32_e32 v13, 0x400, v126
	ds_read2_b32 v[14:15], v126 offset0:34 offset1:69
	ds_read2_b32 v[6:7], v126 offset0:104 offset1:139
	;; [unrolled: 1-line block ×7, first 2 shown]
	v_add_u32_e32 v13, 0x800, v126
	ds_read2_b32 v[34:35], v13 offset0:12 offset1:47
	ds_read_b32 v139, v126 offset:2376
.LBB0_16:
	s_or_b64 exec, exec, s[6:7]
	v_mov_b32_e32 v13, 37
	v_mul_lo_u16_sdwa v72, v122, v13 dst_sel:DWORD dst_unused:UNUSED_PAD src0_sel:BYTE_0 src1_sel:DWORD
	v_sub_u16_sdwa v73, v122, v72 dst_sel:DWORD dst_unused:UNUSED_PAD src0_sel:DWORD src1_sel:BYTE_1
	v_lshrrev_b16_e32 v73, 1, v73
	v_and_b32_e32 v73, 0x7f, v73
	v_add_u16_sdwa v72, v73, v72 dst_sel:DWORD dst_unused:UNUSED_PAD src0_sel:DWORD src1_sel:BYTE_1
	v_lshrrev_b16_e32 v134, 2, v72
	v_mul_lo_u16_e32 v72, 7, v134
	v_sub_u16_e32 v135, v122, v72
	v_mov_b32_e32 v104, 7
	v_lshlrev_b32_sdwa v72, v104, v135 dst_sel:DWORD dst_unused:UNUSED_PAD src0_sel:DWORD src1_sel:BYTE_0
	global_load_dwordx4 v[100:103], v72, s[4:5] offset:48
	global_load_dwordx4 v[142:145], v72, s[4:5] offset:32
	;; [unrolled: 1-line block ×3, first 2 shown]
	global_load_dwordx4 v[96:99], v72, s[4:5]
	v_add_u32_e32 v88, 17, v122
	v_add_u32_e32 v82, 34, v122
	s_mov_b32 s17, 0xbf7ba420
	s_mov_b32 s13, 0x3f6eb680
	;; [unrolled: 1-line block ×8, first 2 shown]
	s_movk_i32 s6, 0x1dc
	s_waitcnt vmcnt(2)
	v_mul_f32_e32 v76, v113, v145
	s_waitcnt lgkmcnt(12)
	v_fmac_f32_e32 v76, v63, v144
	s_waitcnt vmcnt(0)
	v_mul_f32_e32 v128, v21, v97
	v_mul_f32_e32 v73, v19, v97
	v_fmac_f32_e32 v128, v19, v96
	v_mul_f32_e32 v19, v71, v99
	v_fma_f32 v126, v121, v98, -v19
	v_mul_f32_e32 v19, v69, v147
	v_mul_f32_e32 v121, v121, v99
	v_fma_f32 v105, v119, v146, -v19
	v_mul_f32_e32 v19, v67, v149
	v_fmac_f32_e32 v121, v71, v98
	v_fma_f32 v98, v117, v148, -v19
	v_mul_f32_e32 v19, v65, v143
	v_fma_f32 v95, v115, v142, -v19
	v_mul_f32_e32 v19, v63, v145
	;; [unrolled: 2-line block ×3, first 2 shown]
	v_mul_f32_e32 v99, v117, v149
	v_fma_f32 v73, v113, v144, -v19
	s_waitcnt lgkmcnt(11)
	v_mul_f32_e32 v19, v61, v101
	v_fmac_f32_e32 v119, v69, v146
	v_fmac_f32_e32 v99, v67, v148
	v_mul_f32_e32 v96, v115, v143
	v_fma_f32 v67, v111, v100, -v19
	v_mul_f32_e32 v69, v111, v101
	s_waitcnt lgkmcnt(10)
	v_mul_f32_e32 v19, v59, v103
	v_mul_f32_e32 v63, v109, v103
	v_fmac_f32_e32 v96, v65, v142
	v_fmac_f32_e32 v69, v61, v100
	v_fma_f32 v61, v109, v102, -v19
	v_fmac_f32_e32 v63, v59, v102
	global_load_dwordx4 v[100:103], v72, s[4:5] offset:112
	global_load_dwordx4 v[142:145], v72, s[4:5] offset:96
	global_load_dwordx4 v[146:149], v72, s[4:5] offset:80
	global_load_dwordx4 v[150:153], v72, s[4:5] offset:64
	s_waitcnt vmcnt(3)
	v_mul_f32_e32 v131, v75, v103
	s_waitcnt vmcnt(2)
	v_mul_f32_e32 v111, v85, v143
	;; [unrolled: 2-line block ×3, first 2 shown]
	s_waitcnt vmcnt(0) lgkmcnt(9)
	v_mul_f32_e32 v19, v57, v151
	v_fma_f32 v59, v107, v150, -v19
	s_waitcnt lgkmcnt(8)
	v_mul_f32_e32 v19, v55, v153
	v_fma_f32 v71, v93, v152, -v19
	s_waitcnt lgkmcnt(7)
	;; [unrolled: 3-line block ×3, first 2 shown]
	v_mul_f32_e32 v19, v51, v149
	v_mul_f32_e32 v72, v93, v153
	v_fma_f32 v93, v87, v148, -v19
	s_waitcnt lgkmcnt(5)
	v_mul_f32_e32 v19, v49, v143
	v_mul_f32_e32 v65, v107, v151
	v_fma_f32 v107, v85, v142, -v19
	s_waitcnt lgkmcnt(4)
	v_mul_f32_e32 v19, v47, v145
	v_fma_f32 v113, v81, v144, -v19
	s_waitcnt lgkmcnt(3)
	;; [unrolled: 3-line block ×3, first 2 shown]
	v_mul_f32_e32 v19, v43, v103
	v_fma_f32 v130, v75, v102, -v19
	v_mul_lo_u16_sdwa v19, v88, v13 dst_sel:DWORD dst_unused:UNUSED_PAD src0_sel:BYTE_0 src1_sel:DWORD
	v_sub_u16_sdwa v21, v88, v19 dst_sel:DWORD dst_unused:UNUSED_PAD src0_sel:DWORD src1_sel:BYTE_1
	v_lshrrev_b16_e32 v21, 1, v21
	v_and_b32_e32 v21, 0x7f, v21
	v_add_u16_sdwa v19, v21, v19 dst_sel:DWORD dst_unused:UNUSED_PAD src0_sel:DWORD src1_sel:BYTE_1
	v_lshrrev_b16_e32 v137, 2, v19
	v_mul_lo_u16_e32 v19, 7, v137
	v_sub_u16_e32 v138, v88, v19
	v_mul_f32_e32 v91, v91, v147
	v_mul_f32_e32 v115, v81, v145
	v_fmac_f32_e32 v131, v43, v102
	v_lshlrev_b32_sdwa v43, v104, v138 dst_sel:DWORD dst_unused:UNUSED_PAD src0_sel:DWORD src1_sel:BYTE_0
	v_fmac_f32_e32 v65, v57, v150
	v_fmac_f32_e32 v72, v55, v152
	;; [unrolled: 1-line block ×6, first 2 shown]
	global_load_dwordx4 v[142:145], v43, s[4:5] offset:48
	global_load_dwordx4 v[146:149], v43, s[4:5] offset:32
	;; [unrolled: 1-line block ×3, first 2 shown]
	global_load_dwordx4 v[154:157], v43, s[4:5]
	v_mul_f32_e32 v129, v79, v101
	v_fmac_f32_e32 v129, v45, v100
	v_mul_lo_u16_sdwa v13, v82, v13 dst_sel:DWORD dst_unused:UNUSED_PAD src0_sel:BYTE_0 src1_sel:DWORD
	s_waitcnt vmcnt(3)
	v_mul_f32_e32 v51, v108, v143
	v_mul_f32_e32 v21, v106, v145
	s_waitcnt vmcnt(1)
	v_mul_f32_e32 v79, v114, v153
	s_waitcnt vmcnt(0)
	v_mul_f32_e32 v19, v70, v155
	v_fma_f32 v102, v120, v154, -v19
	v_mul_f32_e32 v19, v68, v157
	v_fma_f32 v100, v118, v156, -v19
	;; [unrolled: 2-line block ×3, first 2 shown]
	v_mul_f32_e32 v19, v64, v153
	v_mul_f32_e32 v109, v120, v155
	;; [unrolled: 1-line block ×3, first 2 shown]
	v_fma_f32 v77, v114, v152, -v19
	v_mul_f32_e32 v19, v62, v147
	v_fmac_f32_e32 v109, v70, v154
	v_fmac_f32_e32 v101, v68, v156
	v_fma_f32 v68, v112, v146, -v19
	v_mul_f32_e32 v70, v112, v147
	v_mul_f32_e32 v19, v60, v149
	v_fmac_f32_e32 v70, v62, v146
	v_fma_f32 v62, v110, v148, -v19
	v_mul_f32_e32 v19, v58, v143
	v_mul_f32_e32 v87, v116, v151
	v_fmac_f32_e32 v79, v64, v152
	v_mul_f32_e32 v64, v110, v149
	v_fma_f32 v45, v108, v142, -v19
	v_mul_f32_e32 v19, v56, v145
	v_fmac_f32_e32 v87, v66, v150
	v_fmac_f32_e32 v64, v60, v148
	v_fmac_f32_e32 v51, v58, v142
	v_fma_f32 v19, v106, v144, -v19
	v_fmac_f32_e32 v21, v56, v144
	global_load_dwordx4 v[142:145], v43, s[4:5] offset:112
	global_load_dwordx4 v[146:149], v43, s[4:5] offset:96
	;; [unrolled: 1-line block ×4, first 2 shown]
	s_waitcnt vmcnt(3)
	v_mul_f32_e32 v112, v74, v143
	v_fmac_f32_e32 v112, v42, v142
	s_waitcnt vmcnt(1)
	v_mul_f32_e32 v83, v86, v151
	s_waitcnt vmcnt(0)
	v_mul_f32_e32 v43, v54, v155
	v_fma_f32 v55, v92, v154, -v43
	v_mul_f32_e32 v57, v92, v155
	v_mul_f32_e32 v43, v52, v157
	v_fmac_f32_e32 v57, v54, v154
	v_fma_f32 v54, v90, v156, -v43
	v_mul_f32_e32 v43, v50, v151
	v_fma_f32 v81, v86, v150, -v43
	v_mul_f32_e32 v43, v48, v153
	v_fmac_f32_e32 v83, v50, v150
	v_fma_f32 v50, v84, v152, -v43
	v_mul_f32_e32 v43, v46, v147
	v_fma_f32 v92, v80, v146, -v43
	v_mul_f32_e32 v43, v44, v149
	;; [unrolled: 2-line block ×3, first 2 shown]
	s_waitcnt lgkmcnt(0)
	v_mul_f32_e32 v42, v140, v145
	v_fma_f32 v116, v132, v144, -v42
	v_sub_u16_sdwa v42, v82, v13 dst_sel:DWORD dst_unused:UNUSED_PAD src0_sel:DWORD src1_sel:BYTE_1
	v_lshrrev_b16_e32 v42, 1, v42
	v_and_b32_e32 v42, 0x7f, v42
	v_add_u16_sdwa v13, v42, v13 dst_sel:DWORD dst_unused:UNUSED_PAD src0_sel:DWORD src1_sel:BYTE_1
	v_lshrrev_b16_e32 v13, 2, v13
	v_mul_lo_u16_e32 v13, 7, v13
	v_sub_u16_e32 v13, v82, v13
	v_mul_f32_e32 v60, v90, v157
	v_mul_f32_e32 v90, v84, v153
	;; [unrolled: 1-line block ×5, first 2 shown]
	v_lshlrev_b32_sdwa v78, v104, v13 dst_sel:DWORD dst_unused:UNUSED_PAD src0_sel:DWORD src1_sel:BYTE_0
	v_fmac_f32_e32 v90, v48, v152
	v_fmac_f32_e32 v103, v46, v146
	;; [unrolled: 1-line block ×3, first 2 shown]
	v_fma_f32 v44, v74, v142, -v43
	v_fmac_f32_e32 v118, v140, v144
	global_load_dwordx4 v[140:143], v78, s[4:5] offset:48
	global_load_dwordx4 v[144:147], v78, s[4:5] offset:32
	;; [unrolled: 1-line block ×3, first 2 shown]
	global_load_dwordx4 v[46:49], v78, s[4:5]
	v_fmac_f32_e32 v60, v52, v156
	s_waitcnt vmcnt(1)
	v_mul_f32_e32 v52, v30, v151
	s_waitcnt vmcnt(0)
	v_mul_f32_e32 v75, v17, v47
	v_mul_f32_e32 v66, v32, v49
	;; [unrolled: 1-line block ×3, first 2 shown]
	v_fmac_f32_e32 v75, v15, v46
	v_mul_f32_e32 v15, v6, v49
	v_fmac_f32_e32 v66, v6, v48
	v_mul_f32_e32 v6, v7, v149
	v_fma_f32 v53, v33, v148, -v6
	v_mul_f32_e32 v6, v4, v151
	v_fmac_f32_e32 v52, v4, v150
	v_mul_f32_e32 v4, v5, v145
	v_fma_f32 v47, v31, v144, -v4
	v_mul_f32_e32 v4, v2, v147
	v_fma_f32 v74, v17, v46, -v42
	v_fma_f32 v43, v0, v146, -v4
	v_mul_f32_e32 v46, v0, v147
	v_mul_f32_e32 v0, v3, v141
	v_fma_f32 v58, v32, v48, -v15
	v_mul_f32_e32 v56, v33, v149
	v_fma_f32 v49, v30, v150, -v6
	;; [unrolled: 2-line block ×3, first 2 shown]
	v_mul_f32_e32 v42, v1, v141
	v_mul_f32_e32 v0, v40, v143
	;; [unrolled: 1-line block ×3, first 2 shown]
	v_fmac_f32_e32 v56, v7, v148
	v_fmac_f32_e32 v48, v5, v144
	;; [unrolled: 1-line block ×4, first 2 shown]
	v_fma_f32 v15, v28, v142, -v0
	v_fmac_f32_e32 v30, v40, v142
	global_load_dwordx4 v[0:3], v78, s[4:5] offset:112
	global_load_dwordx4 v[4:7], v78, s[4:5] offset:96
	;; [unrolled: 1-line block ×4, first 2 shown]
	v_sub_f32_e32 v33, v121, v129
	v_mul_f32_e32 v40, 0xbf2c7751, v33
	s_waitcnt lgkmcnt(0)
	; wave barrier
	s_waitcnt vmcnt(3)
	v_mul_f32_e32 v132, v23, v1
	s_waitcnt vmcnt(2)
	v_mul_f32_e32 v114, v25, v5
	;; [unrolled: 2-line block ×4, first 2 shown]
	v_fma_f32 v78, v29, v144, -v17
	v_mul_f32_e32 v17, v38, v147
	v_fma_f32 v84, v26, v146, -v17
	v_mul_f32_e32 v86, v26, v147
	v_mul_f32_e32 v17, v39, v141
	v_fmac_f32_e32 v86, v38, v146
	v_fma_f32 v38, v27, v140, -v17
	v_mul_f32_e32 v17, v36, v143
	v_fmac_f32_e32 v104, v39, v140
	v_fma_f32 v39, v24, v142, -v17
	v_mul_f32_e32 v110, v24, v143
	v_mul_f32_e32 v17, v37, v5
	v_fmac_f32_e32 v110, v36, v142
	v_fma_f32 v36, v25, v4, -v17
	v_fmac_f32_e32 v114, v37, v4
	v_mul_f32_e32 v4, v34, v7
	v_fma_f32 v37, v22, v6, -v4
	v_mul_f32_e32 v120, v22, v7
	v_mul_f32_e32 v4, v35, v1
	v_fmac_f32_e32 v120, v34, v6
	v_fma_f32 v34, v23, v0, -v4
	v_fmac_f32_e32 v132, v35, v0
	v_mul_f32_e32 v0, v139, v3
	v_fma_f32 v35, v133, v2, -v0
	v_mul_f32_e32 v133, v133, v3
	v_fmac_f32_e32 v133, v139, v2
	v_sub_f32_e32 v2, v128, v131
	v_add_f32_e32 v1, v127, v130
	v_mul_f32_e32 v3, 0xbeb8f4ab, v2
	v_mul_f32_e32 v5, 0xbf2c7751, v2
	;; [unrolled: 1-line block ×8, first 2 shown]
	v_fma_f32 v32, v1, s17, -v2
	v_fmac_f32_e32 v2, 0xbf7ba420, v1
	v_mul_f32_e32 v80, v29, v145
	v_fma_f32 v4, v1, s13, -v3
	v_fmac_f32_e32 v3, 0x3f6eb680, v1
	v_fma_f32 v6, v1, s12, -v5
	v_fmac_f32_e32 v5, 0x3f3d2fb0, v1
	;; [unrolled: 2-line block ×7, first 2 shown]
	v_add_f32_e32 v1, v136, v2
	v_add_f32_e32 v2, v126, v117
	v_fmac_f32_e32 v80, v41, v144
	v_add_f32_e32 v3, v136, v3
	v_fma_f32 v41, v2, s12, -v40
	v_fmac_f32_e32 v40, 0x3f3d2fb0, v2
	v_add_f32_e32 v4, v136, v4
	v_add_f32_e32 v3, v40, v3
	v_mul_f32_e32 v40, 0xbf7ee86f, v33
	v_add_f32_e32 v5, v136, v5
	v_add_f32_e32 v4, v41, v4
	v_fma_f32 v41, v2, s8, -v40
	v_fmac_f32_e32 v40, 0x3dbcf732, v2
	v_add_f32_e32 v6, v136, v6
	v_add_f32_e32 v5, v40, v5
	v_mul_f32_e32 v40, 0xbf4c4adb, v33
	v_add_f32_e32 v7, v136, v7
	v_add_f32_e32 v6, v41, v6
	v_fma_f32 v41, v2, s15, -v40
	v_fmac_f32_e32 v40, 0xbf1a4643, v2
	v_add_f32_e32 v17, v136, v17
	v_add_f32_e32 v7, v40, v7
	v_mul_f32_e32 v40, 0xbe3c28d5, v33
	v_add_f32_e32 v22, v136, v22
	v_add_f32_e32 v17, v41, v17
	v_fma_f32 v41, v2, s17, -v40
	v_fmac_f32_e32 v40, 0xbf7ba420, v2
	v_add_f32_e32 v23, v136, v23
	v_add_f32_e32 v22, v40, v22
	v_mul_f32_e32 v40, 0x3f06c442, v33
	v_add_f32_e32 v24, v136, v24
	v_add_f32_e32 v23, v41, v23
	v_fma_f32 v41, v2, s16, -v40
	v_fmac_f32_e32 v40, 0xbf59a7d5, v2
	v_add_f32_e32 v25, v136, v25
	v_add_f32_e32 v24, v40, v24
	v_mul_f32_e32 v40, 0x3f763a35, v33
	v_add_f32_e32 v26, v136, v26
	v_add_f32_e32 v25, v41, v25
	v_fma_f32 v41, v2, s14, -v40
	v_fmac_f32_e32 v40, 0xbe8c1d8e, v2
	v_add_f32_e32 v27, v136, v27
	v_add_f32_e32 v26, v40, v26
	v_mul_f32_e32 v40, 0x3f65296c, v33
	v_add_f32_e32 v28, v136, v28
	v_add_f32_e32 v27, v41, v27
	v_fma_f32 v41, v2, s9, -v40
	v_fmac_f32_e32 v40, 0x3ee437d1, v2
	v_mul_f32_e32 v33, 0x3eb8f4ab, v33
	v_add_f32_e32 v28, v40, v28
	v_fma_f32 v40, v2, s13, -v33
	v_fmac_f32_e32 v33, 0x3f6eb680, v2
	v_add_f32_e32 v32, v136, v32
	v_add_f32_e32 v1, v33, v1
	v_sub_f32_e32 v33, v119, v115
	v_add_f32_e32 v29, v136, v29
	v_add_f32_e32 v32, v40, v32
	;; [unrolled: 1-line block ×3, first 2 shown]
	v_mul_f32_e32 v40, 0xbf65296c, v33
	v_add_f32_e32 v29, v41, v29
	v_fma_f32 v41, v2, s9, -v40
	v_fmac_f32_e32 v40, 0x3ee437d1, v2
	v_add_f32_e32 v3, v40, v3
	v_mul_f32_e32 v40, 0xbf4c4adb, v33
	v_add_f32_e32 v4, v41, v4
	v_fma_f32 v41, v2, s15, -v40
	v_fmac_f32_e32 v40, 0xbf1a4643, v2
	v_add_f32_e32 v5, v40, v5
	v_mul_f32_e32 v40, 0x3e3c28d5, v33
	v_add_f32_e32 v6, v41, v6
	v_fma_f32 v41, v2, s17, -v40
	v_fmac_f32_e32 v40, 0xbf7ba420, v2
	v_add_f32_e32 v7, v40, v7
	v_mul_f32_e32 v40, 0x3f763a35, v33
	v_add_f32_e32 v17, v41, v17
	v_fma_f32 v41, v2, s14, -v40
	v_fmac_f32_e32 v40, 0xbe8c1d8e, v2
	v_add_f32_e32 v22, v40, v22
	v_mul_f32_e32 v40, 0x3f2c7751, v33
	v_add_f32_e32 v23, v41, v23
	v_fma_f32 v41, v2, s12, -v40
	v_fmac_f32_e32 v40, 0x3f3d2fb0, v2
	v_add_f32_e32 v24, v40, v24
	v_mul_f32_e32 v40, 0xbeb8f4ab, v33
	v_add_f32_e32 v25, v41, v25
	v_fma_f32 v41, v2, s13, -v40
	v_fmac_f32_e32 v40, 0x3f6eb680, v2
	v_add_f32_e32 v26, v40, v26
	v_mul_f32_e32 v40, 0xbf7ee86f, v33
	v_add_f32_e32 v27, v41, v27
	v_fma_f32 v41, v2, s8, -v40
	v_fmac_f32_e32 v40, 0x3dbcf732, v2
	v_mul_f32_e32 v33, 0xbf06c442, v33
	v_add_f32_e32 v28, v40, v28
	v_fma_f32 v40, v2, s16, -v33
	v_fmac_f32_e32 v33, 0xbf59a7d5, v2
	v_add_f32_e32 v1, v33, v1
	v_sub_f32_e32 v33, v99, v111
	v_add_f32_e32 v32, v40, v32
	v_add_f32_e32 v2, v98, v107
	v_mul_f32_e32 v40, 0xbf7ee86f, v33
	v_add_f32_e32 v29, v41, v29
	v_fma_f32 v41, v2, s8, -v40
	v_fmac_f32_e32 v40, 0x3dbcf732, v2
	v_add_f32_e32 v3, v40, v3
	v_mul_f32_e32 v40, 0xbe3c28d5, v33
	v_add_f32_e32 v4, v41, v4
	v_fma_f32 v41, v2, s17, -v40
	v_fmac_f32_e32 v40, 0xbf7ba420, v2
	v_add_f32_e32 v5, v40, v5
	v_mul_f32_e32 v40, 0x3f763a35, v33
	v_add_f32_e32 v6, v41, v6
	v_fma_f32 v41, v2, s14, -v40
	v_fmac_f32_e32 v40, 0xbe8c1d8e, v2
	v_add_f32_e32 v7, v40, v7
	v_mul_f32_e32 v40, 0x3eb8f4ab, v33
	v_add_f32_e32 v17, v41, v17
	v_fma_f32 v41, v2, s13, -v40
	v_fmac_f32_e32 v40, 0x3f6eb680, v2
	v_add_f32_e32 v22, v40, v22
	v_mul_f32_e32 v40, 0xbf65296c, v33
	v_add_f32_e32 v23, v41, v23
	v_fma_f32 v41, v2, s9, -v40
	v_fmac_f32_e32 v40, 0x3ee437d1, v2
	v_add_f32_e32 v24, v40, v24
	v_mul_f32_e32 v40, 0xbf06c442, v33
	v_add_f32_e32 v25, v41, v25
	v_fma_f32 v41, v2, s16, -v40
	v_fmac_f32_e32 v40, 0xbf59a7d5, v2
	v_add_f32_e32 v26, v40, v26
	v_mul_f32_e32 v40, 0x3f4c4adb, v33
	v_add_f32_e32 v27, v41, v27
	v_fma_f32 v41, v2, s15, -v40
	v_fmac_f32_e32 v40, 0xbf1a4643, v2
	v_mul_f32_e32 v33, 0x3f2c7751, v33
	v_add_f32_e32 v28, v40, v28
	v_fma_f32 v40, v2, s12, -v33
	v_fmac_f32_e32 v33, 0x3f3d2fb0, v2
	v_add_f32_e32 v1, v33, v1
	v_sub_f32_e32 v33, v96, v97
	v_add_f32_e32 v32, v40, v32
	v_add_f32_e32 v2, v95, v93
	;; [unrolled: 42-line block ×5, first 2 shown]
	v_mul_f32_e32 v40, 0xbe3c28d5, v33
	v_add_f32_e32 v29, v41, v29
	v_fma_f32 v41, v2, s17, -v40
	v_fmac_f32_e32 v40, 0xbf7ba420, v2
	v_add_f32_e32 v3, v40, v3
	v_mul_f32_e32 v40, 0x3eb8f4ab, v33
	v_add_f32_e32 v4, v41, v4
	v_fma_f32 v41, v2, s13, -v40
	v_fmac_f32_e32 v40, 0x3f6eb680, v2
	v_add_f32_e32 v5, v40, v5
	;; [unrolled: 5-line block ×6, first 2 shown]
	v_mul_f32_e32 v40, 0xbf763a35, v33
	v_add_f32_e32 v27, v41, v27
	v_fma_f32 v41, v2, s14, -v40
	v_fmac_f32_e32 v40, 0xbe8c1d8e, v2
	v_mul_f32_e32 v33, 0x3f7ee86f, v33
	v_add_f32_e32 v28, v40, v28
	v_fma_f32 v40, v2, s8, -v33
	v_fmac_f32_e32 v33, 0x3dbcf732, v2
	v_add_f32_e32 v2, v33, v1
	v_add_f32_e32 v1, v20, v102
	;; [unrolled: 1-line block ×17, first 2 shown]
	v_sub_f32_e32 v40, v109, v118
	v_add_f32_e32 v29, v41, v29
	v_add_f32_e32 v33, v1, v116
	;; [unrolled: 1-line block ×3, first 2 shown]
	v_mul_f32_e32 v41, 0xbeb8f4ab, v40
	v_mul_f32_e32 v139, 0xbf2c7751, v40
	;; [unrolled: 1-line block ×8, first 2 shown]
	v_fma_f32 v151, v1, s17, -v40
	v_fmac_f32_e32 v40, 0xbf7ba420, v1
	v_add_f32_e32 v0, v136, v127
	v_fma_f32 v136, v1, s13, -v41
	v_fmac_f32_e32 v41, 0x3f6eb680, v1
	v_fma_f32 v140, v1, s12, -v139
	v_fmac_f32_e32 v139, 0x3f3d2fb0, v1
	;; [unrolled: 2-line block ×7, first 2 shown]
	v_add_f32_e32 v1, v20, v40
	v_sub_f32_e32 v40, v101, v112
	v_add_f32_e32 v136, v20, v136
	v_add_f32_e32 v41, v20, v41
	;; [unrolled: 1-line block ×16, first 2 shown]
	v_mul_f32_e32 v152, 0xbf2c7751, v40
	v_fma_f32 v153, v20, s12, -v152
	v_fmac_f32_e32 v152, 0x3f3d2fb0, v20
	v_add_f32_e32 v41, v152, v41
	v_mul_f32_e32 v152, 0xbf7ee86f, v40
	v_add_f32_e32 v136, v153, v136
	v_fma_f32 v153, v20, s8, -v152
	v_fmac_f32_e32 v152, 0x3dbcf732, v20
	v_add_f32_e32 v139, v152, v139
	v_mul_f32_e32 v152, 0xbf4c4adb, v40
	v_add_f32_e32 v140, v153, v140
	v_fma_f32 v153, v20, s15, -v152
	v_fmac_f32_e32 v152, 0xbf1a4643, v20
	v_add_f32_e32 v141, v152, v141
	v_mul_f32_e32 v152, 0xbe3c28d5, v40
	v_add_f32_e32 v142, v153, v142
	v_fma_f32 v153, v20, s17, -v152
	v_fmac_f32_e32 v152, 0xbf7ba420, v20
	v_add_f32_e32 v143, v152, v143
	v_mul_f32_e32 v152, 0x3f06c442, v40
	v_add_f32_e32 v144, v153, v144
	v_fma_f32 v153, v20, s16, -v152
	v_fmac_f32_e32 v152, 0xbf59a7d5, v20
	v_add_f32_e32 v145, v152, v145
	v_mul_f32_e32 v152, 0x3f763a35, v40
	v_add_f32_e32 v146, v153, v146
	v_fma_f32 v153, v20, s14, -v152
	v_fmac_f32_e32 v152, 0xbe8c1d8e, v20
	v_add_f32_e32 v147, v152, v147
	v_mul_f32_e32 v152, 0x3f65296c, v40
	v_add_f32_e32 v148, v153, v148
	v_fma_f32 v153, v20, s9, -v152
	v_fmac_f32_e32 v152, 0x3ee437d1, v20
	v_mul_f32_e32 v40, 0x3eb8f4ab, v40
	v_add_f32_e32 v149, v152, v149
	v_fma_f32 v152, v20, s13, -v40
	v_fmac_f32_e32 v40, 0x3f6eb680, v20
	v_add_f32_e32 v1, v40, v1
	v_sub_f32_e32 v40, v87, v108
	v_add_f32_e32 v151, v152, v151
	v_add_f32_e32 v20, v85, v106
	v_mul_f32_e32 v152, 0xbf65296c, v40
	v_add_f32_e32 v150, v153, v150
	v_fma_f32 v153, v20, s9, -v152
	v_fmac_f32_e32 v152, 0x3ee437d1, v20
	v_add_f32_e32 v41, v152, v41
	v_mul_f32_e32 v152, 0xbf4c4adb, v40
	v_add_f32_e32 v136, v153, v136
	v_fma_f32 v153, v20, s15, -v152
	v_fmac_f32_e32 v152, 0xbf1a4643, v20
	v_add_f32_e32 v139, v152, v139
	v_mul_f32_e32 v152, 0x3e3c28d5, v40
	v_add_f32_e32 v140, v153, v140
	v_fma_f32 v153, v20, s17, -v152
	v_fmac_f32_e32 v152, 0xbf7ba420, v20
	v_add_f32_e32 v141, v152, v141
	v_mul_f32_e32 v152, 0x3f763a35, v40
	v_add_f32_e32 v142, v153, v142
	v_fma_f32 v153, v20, s14, -v152
	v_fmac_f32_e32 v152, 0xbe8c1d8e, v20
	v_add_f32_e32 v143, v152, v143
	v_mul_f32_e32 v152, 0x3f2c7751, v40
	v_add_f32_e32 v144, v153, v144
	v_fma_f32 v153, v20, s12, -v152
	v_fmac_f32_e32 v152, 0x3f3d2fb0, v20
	v_add_f32_e32 v145, v152, v145
	v_mul_f32_e32 v152, 0xbeb8f4ab, v40
	v_add_f32_e32 v146, v153, v146
	v_fma_f32 v153, v20, s13, -v152
	v_fmac_f32_e32 v152, 0x3f6eb680, v20
	v_add_f32_e32 v147, v152, v147
	v_mul_f32_e32 v152, 0xbf7ee86f, v40
	v_add_f32_e32 v148, v153, v148
	v_fma_f32 v153, v20, s8, -v152
	v_fmac_f32_e32 v152, 0x3dbcf732, v20
	v_mul_f32_e32 v40, 0xbf06c442, v40
	v_add_f32_e32 v149, v152, v149
	v_fma_f32 v152, v20, s16, -v40
	v_fmac_f32_e32 v40, 0xbf59a7d5, v20
	v_add_f32_e32 v1, v40, v1
	v_sub_f32_e32 v40, v79, v103
	v_add_f32_e32 v151, v152, v151
	v_add_f32_e32 v20, v77, v92
	v_mul_f32_e32 v152, 0xbf7ee86f, v40
	v_add_f32_e32 v150, v153, v150
	;; [unrolled: 42-line block ×6, first 2 shown]
	v_fma_f32 v153, v20, s17, -v152
	v_fmac_f32_e32 v152, 0xbf7ba420, v20
	v_add_f32_e32 v41, v152, v41
	v_mul_f32_e32 v152, 0x3eb8f4ab, v40
	v_add_f32_e32 v0, v0, v126
	v_add_f32_e32 v136, v153, v136
	v_fma_f32 v153, v20, s13, -v152
	v_fmac_f32_e32 v152, 0x3f6eb680, v20
	v_add_f32_e32 v0, v0, v105
	v_add_f32_e32 v139, v152, v139
	v_mul_f32_e32 v152, 0xbf06c442, v40
	v_add_f32_e32 v0, v0, v98
	v_add_f32_e32 v140, v153, v140
	v_fma_f32 v153, v20, s16, -v152
	v_fmac_f32_e32 v152, 0xbf59a7d5, v20
	v_add_f32_e32 v0, v0, v95
	;; [unrolled: 7-line block ×5, first 2 shown]
	v_add_f32_e32 v147, v152, v147
	v_mul_f32_e32 v152, 0xbf763a35, v40
	v_add_f32_e32 v0, v0, v93
	v_add_f32_e32 v148, v153, v148
	v_fma_f32 v153, v20, s14, -v152
	v_fmac_f32_e32 v152, 0xbe8c1d8e, v20
	v_mul_f32_e32 v40, 0x3f7ee86f, v40
	v_add_f32_e32 v0, v0, v107
	v_add_f32_e32 v149, v152, v149
	v_fma_f32 v152, v20, s8, -v40
	v_fmac_f32_e32 v40, 0x3dbcf732, v20
	v_add_f32_e32 v0, v0, v113
	v_add_f32_e32 v20, v40, v1
	v_mov_b32_e32 v1, 2
	v_add_f32_e32 v0, v0, v117
	v_mad_u32_u24 v40, v134, s6, 0
	v_lshlrev_b32_sdwa v134, v1, v135 dst_sel:DWORD dst_unused:UNUSED_PAD src0_sel:DWORD src1_sel:BYTE_0
	v_add_f32_e32 v0, v0, v130
	v_add3_u32 v134, v40, v134, v123
	ds_write2_b32 v134, v0, v4 offset1:7
	ds_write2_b32 v134, v6, v17 offset0:14 offset1:21
	ds_write2_b32 v134, v23, v25 offset0:28 offset1:35
	;; [unrolled: 1-line block ×7, first 2 shown]
	ds_write_b32 v134, v3 offset:448
	v_mad_u32_u24 v0, v137, s6, 0
	v_lshlrev_b32_sdwa v2, v1, v138 dst_sel:DWORD dst_unused:UNUSED_PAD src0_sel:DWORD src1_sel:BYTE_0
	v_add3_u32 v135, v0, v2, v123
	v_add_f32_e32 v150, v153, v150
	v_add_f32_e32 v151, v152, v151
	ds_write2_b32 v135, v33, v136 offset1:7
	ds_write2_b32 v135, v140, v142 offset0:14 offset1:21
	ds_write2_b32 v135, v144, v146 offset0:28 offset1:35
	;; [unrolled: 1-line block ×7, first 2 shown]
	ds_write_b32 v135, v41 offset:448
	s_and_saveexec_b64 s[6:7], s[0:1]
	s_cbranch_execz .LBB0_18
; %bb.17:
	v_sub_f32_e32 v2, v75, v133
	v_add_f32_e32 v0, v74, v35
	v_mul_f32_e32 v3, 0xbe3c28d5, v2
	v_sub_f32_e32 v6, v66, v132
	v_fmamk_f32 v4, v0, 0xbf7ba420, v3
	v_add_f32_e32 v5, v58, v34
	v_mul_f32_e32 v7, 0x3eb8f4ab, v6
	v_add_f32_e32 v4, v16, v4
	v_fmamk_f32 v17, v5, 0x3f6eb680, v7
	v_sub_f32_e32 v20, v56, v120
	v_add_f32_e32 v4, v17, v4
	v_add_f32_e32 v17, v53, v37
	v_mul_f32_e32 v22, 0xbf06c442, v20
	v_fmamk_f32 v23, v17, 0xbf59a7d5, v22
	v_sub_f32_e32 v24, v52, v114
	v_add_f32_e32 v4, v23, v4
	v_add_f32_e32 v23, v49, v36
	v_mul_f32_e32 v25, 0x3f2c7751, v24
	;; [unrolled: 5-line block ×3, first 2 shown]
	v_fma_f32 v3, v0, s17, -v3
	v_fmamk_f32 v29, v26, 0xbf1a4643, v28
	v_sub_f32_e32 v32, v46, v104
	v_add_f32_e32 v3, v16, v3
	v_fma_f32 v7, v5, s13, -v7
	v_add_f32_e32 v4, v29, v4
	v_add_f32_e32 v29, v43, v38
	v_mul_f32_e32 v33, 0x3f65296c, v32
	v_add_f32_e32 v3, v7, v3
	v_fma_f32 v7, v17, s16, -v22
	v_fmamk_f32 v40, v29, 0x3ee437d1, v33
	v_sub_f32_e32 v41, v42, v86
	v_add_f32_e32 v3, v7, v3
	v_fma_f32 v7, v23, s12, -v25
	v_add_f32_e32 v4, v40, v4
	v_add_f32_e32 v40, v31, v84
	v_mul_f32_e32 v136, 0xbf763a35, v41
	v_add_f32_e32 v3, v7, v3
	;; [unrolled: 9-line block ×3, first 2 shown]
	v_fma_f32 v7, v40, s14, -v136
	v_add_f32_e32 v3, v7, v3
	v_fma_f32 v7, v137, s8, -v139
	v_add_f32_e32 v3, v7, v3
	v_mul_f32_e32 v7, 0xbf06c442, v2
	v_fmamk_f32 v22, v0, 0xbf59a7d5, v7
	v_mul_f32_e32 v25, 0x3f65296c, v6
	v_add_f32_e32 v22, v16, v22
	v_fmamk_f32 v28, v5, 0x3ee437d1, v25
	v_add_f32_e32 v22, v28, v22
	v_mul_f32_e32 v28, 0xbf7ee86f, v20
	v_fmamk_f32 v33, v17, 0x3dbcf732, v28
	v_add_f32_e32 v22, v33, v22
	v_mul_f32_e32 v33, 0x3f4c4adb, v24
	v_fmamk_f32 v136, v23, 0xbf1a4643, v33
	v_add_f32_e32 v22, v136, v22
	v_mul_f32_e32 v136, 0xbeb8f4ab, v27
	v_fma_f32 v7, v0, s16, -v7
	v_fmamk_f32 v140, v137, 0x3dbcf732, v139
	v_fmamk_f32 v139, v26, 0x3f6eb680, v136
	v_add_f32_e32 v7, v16, v7
	v_fma_f32 v25, v5, s9, -v25
	v_add_f32_e32 v22, v139, v22
	v_mul_f32_e32 v139, 0xbe3c28d5, v32
	v_add_f32_e32 v7, v25, v7
	v_fma_f32 v25, v17, s8, -v28
	v_add_f32_e32 v4, v140, v4
	v_fmamk_f32 v140, v29, 0xbf7ba420, v139
	v_add_f32_e32 v7, v25, v7
	v_fma_f32 v25, v23, s15, -v33
	v_add_f32_e32 v22, v140, v22
	v_mul_f32_e32 v140, 0x3f2c7751, v41
	v_add_f32_e32 v7, v25, v7
	v_fma_f32 v25, v26, s13, -v136
	v_fmamk_f32 v141, v40, 0x3f3d2fb0, v140
	v_add_f32_e32 v7, v25, v7
	v_fma_f32 v25, v29, s17, -v139
	v_add_f32_e32 v22, v141, v22
	v_mul_f32_e32 v141, 0xbf763a35, v138
	v_add_f32_e32 v7, v25, v7
	v_fma_f32 v25, v40, s12, -v140
	v_add_f32_e32 v7, v25, v7
	v_fma_f32 v25, v137, s14, -v141
	v_add_f32_e32 v7, v25, v7
	v_mul_f32_e32 v25, 0xbf4c4adb, v2
	v_fmamk_f32 v28, v0, 0xbf1a4643, v25
	v_mul_f32_e32 v33, 0x3f763a35, v6
	v_add_f32_e32 v28, v16, v28
	v_fmamk_f32 v136, v5, 0xbe8c1d8e, v33
	v_add_f32_e32 v28, v136, v28
	v_mul_f32_e32 v136, 0xbeb8f4ab, v20
	v_fmamk_f32 v139, v17, 0x3f6eb680, v136
	v_add_f32_e32 v28, v139, v28
	v_mul_f32_e32 v139, 0xbf06c442, v24
	v_fmamk_f32 v140, v23, 0xbf59a7d5, v139
	v_add_f32_e32 v28, v140, v28
	v_mul_f32_e32 v140, 0x3f7ee86f, v27
	v_fma_f32 v25, v0, s15, -v25
	v_fmamk_f32 v142, v137, 0xbe8c1d8e, v141
	v_fmamk_f32 v141, v26, 0x3dbcf732, v140
	v_add_f32_e32 v25, v16, v25
	v_fma_f32 v33, v5, s14, -v33
	v_add_f32_e32 v28, v141, v28
	v_mul_f32_e32 v141, 0xbf2c7751, v32
	v_add_f32_e32 v25, v33, v25
	v_fma_f32 v33, v17, s13, -v136
	v_add_f32_e32 v22, v142, v22
	v_fmamk_f32 v142, v29, 0x3f3d2fb0, v141
	v_add_f32_e32 v25, v33, v25
	v_fma_f32 v33, v23, s16, -v139
	v_add_f32_e32 v28, v142, v28
	v_mul_f32_e32 v142, 0xbe3c28d5, v41
	v_add_f32_e32 v25, v33, v25
	v_fma_f32 v33, v26, s8, -v140
	v_fmamk_f32 v143, v40, 0xbf7ba420, v142
	v_add_f32_e32 v25, v33, v25
	v_fma_f32 v33, v29, s12, -v141
	v_add_f32_e32 v28, v143, v28
	v_mul_f32_e32 v143, 0x3f65296c, v138
	v_add_f32_e32 v25, v33, v25
	;; [unrolled: 40-line block ×6, first 2 shown]
	v_fma_f32 v145, v40, s9, -v150
	v_add_f32_e32 v143, v145, v143
	v_fma_f32 v145, v137, s13, -v151
	v_mul_f32_e32 v2, 0xbeb8f4ab, v2
	v_add_f32_e32 v143, v145, v143
	v_fmamk_f32 v145, v0, 0x3f6eb680, v2
	v_mul_f32_e32 v6, 0xbf2c7751, v6
	v_fma_f32 v0, v0, s13, -v2
	v_mul_f32_e32 v20, 0xbf65296c, v20
	v_add_f32_e32 v0, v16, v0
	v_fma_f32 v2, v5, s12, -v6
	v_mul_f32_e32 v24, 0xbf7ee86f, v24
	v_add_f32_e32 v0, v2, v0
	;; [unrolled: 3-line block ×6, first 2 shown]
	v_fma_f32 v2, v40, s16, -v41
	v_add_f32_e32 v0, v2, v0
	v_fma_f32 v2, v137, s17, -v138
	v_add_f32_e32 v0, v2, v0
	v_add_f32_e32 v2, v16, v74
	v_add_f32_e32 v2, v2, v58
	v_add_f32_e32 v2, v2, v53
	v_add_f32_e32 v2, v2, v49
	v_add_f32_e32 v2, v2, v47
	v_add_f32_e32 v2, v2, v43
	v_add_f32_e32 v2, v2, v31
	v_add_f32_e32 v2, v2, v15
	v_add_f32_e32 v2, v2, v78
	v_add_f32_e32 v2, v2, v84
	v_add_f32_e32 v145, v16, v145
	v_fmamk_f32 v146, v5, 0x3f3d2fb0, v6
	v_add_f32_e32 v2, v2, v38
	v_add_f32_e32 v145, v146, v145
	v_fmamk_f32 v146, v17, 0x3ee437d1, v20
	v_add_f32_e32 v2, v2, v39
	v_add_f32_e32 v145, v146, v145
	;; [unrolled: 3-line block ×3, first 2 shown]
	v_fmamk_f32 v146, v26, 0xbe8c1d8e, v27
	v_add_f32_e32 v2, v2, v37
	v_lshlrev_b32_sdwa v1, v1, v13 dst_sel:DWORD dst_unused:UNUSED_PAD src0_sel:DWORD src1_sel:BYTE_0
	v_add_f32_e32 v145, v146, v145
	v_fmamk_f32 v146, v29, 0xbf1a4643, v32
	v_add_f32_e32 v2, v2, v34
	v_add3_u32 v1, 0, v1, v123
	v_add_f32_e32 v145, v146, v145
	v_fmamk_f32 v146, v40, 0xbf59a7d5, v41
	v_add_f32_e32 v2, v2, v35
	v_add_u32_e32 v5, 0x400, v1
	v_fmamk_f32 v152, v137, 0x3f6eb680, v151
	v_add_f32_e32 v145, v146, v145
	v_fmamk_f32 v146, v137, 0xbf7ba420, v138
	ds_write2_b32 v5, v2, v0 offset0:220 offset1:227
	ds_write2_b32 v5, v143, v141 offset0:234 offset1:241
	;; [unrolled: 1-line block ×3, first 2 shown]
	v_add_u32_e32 v0, 0x800, v1
	v_add_f32_e32 v144, v152, v144
	v_add_f32_e32 v145, v146, v145
	ds_write2_b32 v0, v25, v7 offset0:6 offset1:13
	ds_write2_b32 v0, v3, v4 offset0:20 offset1:27
	;; [unrolled: 1-line block ×5, first 2 shown]
	ds_write_b32 v1, v145 offset:2352
.LBB0_18:
	s_or_b64 exec, exec, s[6:7]
	v_add_f32_e32 v0, v94, v128
	v_add_f32_e32 v0, v0, v121
	;; [unrolled: 1-line block ×15, first 2 shown]
	v_sub_f32_e32 v1, v127, v130
	v_add_f32_e32 v136, v0, v131
	v_add_f32_e32 v0, v128, v131
	v_mul_f32_e32 v2, 0xbeb8f4ab, v1
	v_mul_f32_e32 v4, 0xbf2c7751, v1
	;; [unrolled: 1-line block ×8, first 2 shown]
	v_sub_f32_e32 v28, v126, v117
	v_fmamk_f32 v3, v0, 0x3f6eb680, v2
	v_fma_f32 v2, v0, s13, -v2
	v_fmamk_f32 v5, v0, 0x3f3d2fb0, v4
	v_fma_f32 v4, v0, s12, -v4
	;; [unrolled: 2-line block ×8, first 2 shown]
	v_add_f32_e32 v1, v121, v129
	v_mul_f32_e32 v29, 0xbf2c7751, v28
	v_add_f32_e32 v2, v94, v2
	v_fmamk_f32 v32, v1, 0x3f3d2fb0, v29
	v_fma_f32 v29, v1, s12, -v29
	v_add_f32_e32 v3, v94, v3
	v_add_f32_e32 v2, v29, v2
	v_mul_f32_e32 v29, 0xbf7ee86f, v28
	v_add_f32_e32 v4, v94, v4
	v_add_f32_e32 v3, v32, v3
	v_fmamk_f32 v32, v1, 0x3dbcf732, v29
	v_fma_f32 v29, v1, s8, -v29
	v_add_f32_e32 v5, v94, v5
	v_add_f32_e32 v4, v29, v4
	v_mul_f32_e32 v29, 0xbf4c4adb, v28
	v_add_f32_e32 v6, v94, v6
	;; [unrolled: 7-line block ×6, first 2 shown]
	v_add_f32_e32 v24, v32, v24
	v_fmamk_f32 v32, v1, 0x3ee437d1, v29
	v_fma_f32 v29, v1, s9, -v29
	v_mul_f32_e32 v28, 0x3eb8f4ab, v28
	v_add_f32_e32 v27, v94, v27
	v_add_f32_e32 v0, v94, v0
	;; [unrolled: 1-line block ×3, first 2 shown]
	v_fmamk_f32 v29, v1, 0x3f6eb680, v28
	v_fma_f32 v1, v1, s13, -v28
	v_sub_f32_e32 v28, v105, v113
	v_add_f32_e32 v26, v94, v26
	v_add_f32_e32 v27, v29, v27
	;; [unrolled: 1-line block ×4, first 2 shown]
	v_mul_f32_e32 v29, 0xbf65296c, v28
	v_add_f32_e32 v26, v32, v26
	v_fmamk_f32 v32, v1, 0x3ee437d1, v29
	v_fma_f32 v29, v1, s9, -v29
	v_add_f32_e32 v2, v29, v2
	v_mul_f32_e32 v29, 0xbf4c4adb, v28
	v_add_f32_e32 v3, v32, v3
	v_fmamk_f32 v32, v1, 0xbf1a4643, v29
	v_fma_f32 v29, v1, s15, -v29
	v_add_f32_e32 v4, v29, v4
	v_mul_f32_e32 v29, 0x3e3c28d5, v28
	v_add_f32_e32 v5, v32, v5
	v_fmamk_f32 v32, v1, 0xbf7ba420, v29
	v_fma_f32 v29, v1, s17, -v29
	v_add_f32_e32 v6, v29, v6
	v_mul_f32_e32 v29, 0x3f763a35, v28
	v_add_f32_e32 v7, v32, v7
	v_fmamk_f32 v32, v1, 0xbe8c1d8e, v29
	v_fma_f32 v29, v1, s14, -v29
	v_add_f32_e32 v16, v29, v16
	v_mul_f32_e32 v29, 0x3f2c7751, v28
	v_add_f32_e32 v17, v32, v17
	v_fmamk_f32 v32, v1, 0x3f3d2fb0, v29
	v_fma_f32 v29, v1, s12, -v29
	v_add_f32_e32 v20, v29, v20
	v_mul_f32_e32 v29, 0xbeb8f4ab, v28
	v_add_f32_e32 v22, v32, v22
	v_fmamk_f32 v32, v1, 0x3f6eb680, v29
	v_fma_f32 v29, v1, s13, -v29
	v_add_f32_e32 v23, v29, v23
	v_mul_f32_e32 v29, 0xbf7ee86f, v28
	v_add_f32_e32 v24, v32, v24
	v_fmamk_f32 v32, v1, 0x3dbcf732, v29
	v_fma_f32 v29, v1, s8, -v29
	v_mul_f32_e32 v28, 0xbf06c442, v28
	v_add_f32_e32 v25, v29, v25
	v_fmamk_f32 v29, v1, 0xbf59a7d5, v28
	v_fma_f32 v1, v1, s16, -v28
	v_sub_f32_e32 v28, v98, v107
	v_add_f32_e32 v27, v29, v27
	v_add_f32_e32 v0, v1, v0
	v_add_f32_e32 v1, v99, v111
	v_mul_f32_e32 v29, 0xbf7ee86f, v28
	v_add_f32_e32 v26, v32, v26
	v_fmamk_f32 v32, v1, 0x3dbcf732, v29
	v_fma_f32 v29, v1, s8, -v29
	v_add_f32_e32 v2, v29, v2
	v_mul_f32_e32 v29, 0xbe3c28d5, v28
	v_add_f32_e32 v3, v32, v3
	v_fmamk_f32 v32, v1, 0xbf7ba420, v29
	v_fma_f32 v29, v1, s17, -v29
	v_add_f32_e32 v4, v29, v4
	v_mul_f32_e32 v29, 0x3f763a35, v28
	v_add_f32_e32 v5, v32, v5
	v_fmamk_f32 v32, v1, 0xbe8c1d8e, v29
	v_fma_f32 v29, v1, s14, -v29
	v_add_f32_e32 v6, v29, v6
	v_mul_f32_e32 v29, 0x3eb8f4ab, v28
	v_add_f32_e32 v7, v32, v7
	v_fmamk_f32 v32, v1, 0x3f6eb680, v29
	v_fma_f32 v29, v1, s13, -v29
	v_add_f32_e32 v16, v29, v16
	v_mul_f32_e32 v29, 0xbf65296c, v28
	v_add_f32_e32 v17, v32, v17
	v_fmamk_f32 v32, v1, 0x3ee437d1, v29
	v_fma_f32 v29, v1, s9, -v29
	v_add_f32_e32 v20, v29, v20
	v_mul_f32_e32 v29, 0xbf06c442, v28
	v_add_f32_e32 v22, v32, v22
	v_fmamk_f32 v32, v1, 0xbf59a7d5, v29
	v_fma_f32 v29, v1, s16, -v29
	v_add_f32_e32 v23, v29, v23
	v_mul_f32_e32 v29, 0x3f4c4adb, v28
	v_add_f32_e32 v24, v32, v24
	v_fmamk_f32 v32, v1, 0xbf1a4643, v29
	v_fma_f32 v29, v1, s15, -v29
	v_mul_f32_e32 v28, 0x3f2c7751, v28
	v_add_f32_e32 v25, v29, v25
	v_fmamk_f32 v29, v1, 0x3f3d2fb0, v28
	v_fma_f32 v1, v1, s12, -v28
	v_sub_f32_e32 v28, v95, v93
	v_add_f32_e32 v27, v29, v27
	v_add_f32_e32 v0, v1, v0
	v_add_f32_e32 v1, v96, v97
	;; [unrolled: 42-line block ×5, first 2 shown]
	v_mul_f32_e32 v29, 0xbe3c28d5, v28
	v_add_f32_e32 v26, v32, v26
	v_fmamk_f32 v32, v1, 0xbf7ba420, v29
	v_add_f32_e32 v59, v32, v3
	v_fma_f32 v3, v1, s17, -v29
	v_add_f32_e32 v63, v3, v2
	v_mul_f32_e32 v2, 0x3eb8f4ab, v28
	v_fmamk_f32 v3, v1, 0x3f6eb680, v2
	v_fma_f32 v2, v1, s13, -v2
	v_add_f32_e32 v67, v2, v4
	v_mul_f32_e32 v2, 0xbf06c442, v28
	v_add_f32_e32 v65, v3, v5
	v_fmamk_f32 v3, v1, 0xbf59a7d5, v2
	v_fma_f32 v2, v1, s16, -v2
	v_add_f32_e32 v71, v2, v6
	v_mul_f32_e32 v2, 0x3f2c7751, v28
	v_add_f32_e32 v69, v3, v7
	v_fmamk_f32 v3, v1, 0x3f3d2fb0, v2
	v_fma_f32 v2, v1, s12, -v2
	v_add_f32_e32 v73, v2, v16
	v_mul_f32_e32 v2, 0xbf4c4adb, v28
	v_add_f32_e32 v72, v3, v17
	v_fmamk_f32 v3, v1, 0xbf1a4643, v2
	v_fma_f32 v2, v1, s15, -v2
	v_add_f32_e32 v89, v2, v20
	v_mul_f32_e32 v2, 0x3f65296c, v28
	v_add_f32_e32 v76, v3, v22
	v_fmamk_f32 v3, v1, 0x3ee437d1, v2
	v_fma_f32 v2, v1, s9, -v2
	v_add_f32_e32 v93, v2, v23
	v_mul_f32_e32 v2, 0xbf763a35, v28
	v_add_f32_e32 v91, v3, v24
	v_fmamk_f32 v3, v1, 0xbe8c1d8e, v2
	v_fma_f32 v2, v1, s14, -v2
	v_add_f32_e32 v95, v2, v25
	v_mul_f32_e32 v2, 0x3f7ee86f, v28
	v_add_f32_e32 v94, v3, v26
	v_fmamk_f32 v3, v1, 0x3dbcf732, v2
	v_fma_f32 v1, v1, s8, -v2
	v_add_f32_e32 v97, v1, v0
	v_add_f32_e32 v0, v18, v109
	;; [unrolled: 1-line block ×16, first 2 shown]
	v_sub_f32_e32 v1, v102, v116
	v_add_f32_e32 v98, v0, v118
	v_add_f32_e32 v0, v109, v118
	v_mul_f32_e32 v2, 0xbeb8f4ab, v1
	v_mul_f32_e32 v4, 0xbf2c7751, v1
	;; [unrolled: 1-line block ×8, first 2 shown]
	v_add_f32_e32 v96, v3, v27
	v_fmamk_f32 v3, v0, 0x3f6eb680, v2
	v_fma_f32 v2, v0, s13, -v2
	v_fmamk_f32 v5, v0, 0x3f3d2fb0, v4
	v_fma_f32 v4, v0, s12, -v4
	;; [unrolled: 2-line block ×8, first 2 shown]
	v_add_f32_e32 v3, v18, v3
	v_add_f32_e32 v2, v18, v2
	;; [unrolled: 1-line block ×16, first 2 shown]
	v_sub_f32_e32 v18, v100, v44
	v_add_f32_e32 v1, v101, v112
	v_mul_f32_e32 v28, 0xbf2c7751, v18
	v_fmamk_f32 v29, v1, 0x3f3d2fb0, v28
	v_fma_f32 v28, v1, s12, -v28
	v_add_f32_e32 v2, v28, v2
	v_mul_f32_e32 v28, 0xbf7ee86f, v18
	v_add_f32_e32 v3, v29, v3
	v_fmamk_f32 v29, v1, 0x3dbcf732, v28
	v_fma_f32 v28, v1, s8, -v28
	v_add_f32_e32 v4, v28, v4
	v_mul_f32_e32 v28, 0xbf4c4adb, v18
	v_add_f32_e32 v5, v29, v5
	v_fmamk_f32 v29, v1, 0xbf1a4643, v28
	v_fma_f32 v28, v1, s15, -v28
	v_add_f32_e32 v6, v28, v6
	v_mul_f32_e32 v28, 0xbe3c28d5, v18
	v_add_f32_e32 v7, v29, v7
	v_fmamk_f32 v29, v1, 0xbf7ba420, v28
	v_fma_f32 v28, v1, s17, -v28
	v_add_f32_e32 v16, v28, v16
	v_mul_f32_e32 v28, 0x3f06c442, v18
	v_add_f32_e32 v17, v29, v17
	v_fmamk_f32 v29, v1, 0xbf59a7d5, v28
	v_fma_f32 v28, v1, s16, -v28
	v_add_f32_e32 v20, v28, v20
	v_mul_f32_e32 v28, 0x3f763a35, v18
	v_add_f32_e32 v22, v29, v22
	v_fmamk_f32 v29, v1, 0xbe8c1d8e, v28
	v_fma_f32 v28, v1, s14, -v28
	v_add_f32_e32 v23, v28, v23
	v_mul_f32_e32 v28, 0x3f65296c, v18
	v_add_f32_e32 v24, v29, v24
	v_fmamk_f32 v29, v1, 0x3ee437d1, v28
	v_fma_f32 v28, v1, s9, -v28
	v_mul_f32_e32 v18, 0x3eb8f4ab, v18
	v_add_f32_e32 v25, v28, v25
	v_fmamk_f32 v28, v1, 0x3f6eb680, v18
	v_fma_f32 v1, v1, s13, -v18
	v_sub_f32_e32 v18, v85, v106
	v_add_f32_e32 v27, v28, v27
	v_add_f32_e32 v0, v1, v0
	v_add_f32_e32 v1, v87, v108
	v_mul_f32_e32 v28, 0xbf65296c, v18
	v_add_f32_e32 v26, v29, v26
	v_fmamk_f32 v29, v1, 0x3ee437d1, v28
	v_fma_f32 v28, v1, s9, -v28
	v_add_f32_e32 v2, v28, v2
	v_mul_f32_e32 v28, 0xbf4c4adb, v18
	v_add_f32_e32 v3, v29, v3
	v_fmamk_f32 v29, v1, 0xbf1a4643, v28
	v_fma_f32 v28, v1, s15, -v28
	v_add_f32_e32 v4, v28, v4
	v_mul_f32_e32 v28, 0x3e3c28d5, v18
	v_add_f32_e32 v5, v29, v5
	v_fmamk_f32 v29, v1, 0xbf7ba420, v28
	v_fma_f32 v28, v1, s17, -v28
	v_add_f32_e32 v6, v28, v6
	v_mul_f32_e32 v28, 0x3f763a35, v18
	v_add_f32_e32 v7, v29, v7
	v_fmamk_f32 v29, v1, 0xbe8c1d8e, v28
	v_fma_f32 v28, v1, s14, -v28
	v_add_f32_e32 v16, v28, v16
	v_mul_f32_e32 v28, 0x3f2c7751, v18
	v_add_f32_e32 v17, v29, v17
	v_fmamk_f32 v29, v1, 0x3f3d2fb0, v28
	v_fma_f32 v28, v1, s12, -v28
	v_add_f32_e32 v20, v28, v20
	v_mul_f32_e32 v28, 0xbeb8f4ab, v18
	v_add_f32_e32 v22, v29, v22
	v_fmamk_f32 v29, v1, 0x3f6eb680, v28
	v_fma_f32 v28, v1, s13, -v28
	v_add_f32_e32 v23, v28, v23
	v_mul_f32_e32 v28, 0xbf7ee86f, v18
	v_add_f32_e32 v24, v29, v24
	v_fmamk_f32 v29, v1, 0x3dbcf732, v28
	v_fma_f32 v28, v1, s8, -v28
	v_mul_f32_e32 v18, 0xbf06c442, v18
	v_add_f32_e32 v25, v28, v25
	v_fmamk_f32 v28, v1, 0xbf59a7d5, v18
	v_fma_f32 v1, v1, s16, -v18
	v_sub_f32_e32 v18, v77, v92
	v_add_f32_e32 v27, v28, v27
	v_add_f32_e32 v0, v1, v0
	v_add_f32_e32 v1, v79, v103
	v_mul_f32_e32 v28, 0xbf7ee86f, v18
	v_add_f32_e32 v26, v29, v26
	;; [unrolled: 42-line block ×5, first 2 shown]
	v_fmamk_f32 v29, v1, 0xbf59a7d5, v28
	v_fma_f32 v28, v1, s16, -v28
	v_add_f32_e32 v2, v28, v2
	v_mul_f32_e32 v28, 0x3f65296c, v18
	v_add_f32_e32 v3, v29, v3
	v_fmamk_f32 v29, v1, 0x3ee437d1, v28
	v_fma_f32 v28, v1, s9, -v28
	v_add_f32_e32 v4, v28, v4
	v_mul_f32_e32 v28, 0xbf7ee86f, v18
	v_add_f32_e32 v5, v29, v5
	;; [unrolled: 5-line block ×6, first 2 shown]
	v_fmamk_f32 v29, v1, 0x3f3d2fb0, v28
	v_fma_f32 v28, v1, s12, -v28
	v_mul_f32_e32 v18, 0xbf763a35, v18
	v_add_f32_e32 v25, v28, v25
	v_fmamk_f32 v28, v1, 0xbe8c1d8e, v18
	v_fma_f32 v1, v1, s14, -v18
	v_sub_f32_e32 v18, v19, v55
	v_add_f32_e32 v0, v1, v0
	v_add_f32_e32 v1, v21, v57
	v_mul_f32_e32 v19, 0xbe3c28d5, v18
	v_fmamk_f32 v21, v1, 0xbf7ba420, v19
	v_add_f32_e32 v57, v21, v3
	v_fma_f32 v3, v1, s17, -v19
	v_add_f32_e32 v64, v3, v2
	v_mul_f32_e32 v2, 0x3eb8f4ab, v18
	v_fmamk_f32 v3, v1, 0x3f6eb680, v2
	v_fma_f32 v2, v1, s13, -v2
	v_add_f32_e32 v70, v2, v4
	v_mul_f32_e32 v2, 0xbf06c442, v18
	v_add_f32_e32 v68, v3, v5
	v_fmamk_f32 v3, v1, 0xbf59a7d5, v2
	v_fma_f32 v2, v1, s16, -v2
	v_add_f32_e32 v79, v2, v6
	v_mul_f32_e32 v2, 0x3f2c7751, v18
	v_add_f32_e32 v77, v3, v7
	;; [unrolled: 5-line block ×5, first 2 shown]
	v_fmamk_f32 v3, v1, 0xbe8c1d8e, v2
	v_fma_f32 v2, v1, s14, -v2
	v_add_f32_e32 v26, v29, v26
	v_add_f32_e32 v100, v2, v25
	v_mul_f32_e32 v2, 0x3f7ee86f, v18
	v_add_f32_e32 v27, v28, v27
	v_add_f32_e32 v99, v3, v26
	v_fmamk_f32 v3, v1, 0x3dbcf732, v2
	v_fma_f32 v1, v1, s8, -v2
	v_add_u32_e32 v6, 0x400, v125
	v_add_u32_e32 v4, 0x200, v125
	;; [unrolled: 1-line block ×3, first 2 shown]
	v_add_f32_e32 v101, v3, v27
	v_add_f32_e32 v102, v1, v0
	s_waitcnt lgkmcnt(0)
	; wave barrier
	s_waitcnt lgkmcnt(0)
	ds_read_b32 v62, v124
	ds_read2_b32 v[54:55], v125 offset0:119 offset1:136
	ds_read2_b32 v[0:1], v125 offset0:221 offset1:238
	;; [unrolled: 1-line block ×17, first 2 shown]
	s_waitcnt lgkmcnt(0)
	; wave barrier
	s_waitcnt lgkmcnt(0)
	ds_write2_b32 v134, v136, v59 offset1:7
	ds_write2_b32 v134, v65, v69 offset0:14 offset1:21
	ds_write2_b32 v134, v72, v76 offset0:28 offset1:35
	;; [unrolled: 1-line block ×7, first 2 shown]
	ds_write_b32 v134, v63 offset:448
	ds_write2_b32 v135, v98, v57 offset1:7
	ds_write2_b32 v135, v68, v77 offset0:14 offset1:21
	ds_write2_b32 v135, v81, v85 offset0:28 offset1:35
	ds_write2_b32 v135, v90, v99 offset0:42 offset1:49
	ds_write2_b32 v135, v101, v102 offset0:56 offset1:63
	ds_write2_b32 v135, v100, v92 offset0:70 offset1:77
	ds_write2_b32 v135, v87, v83 offset0:84 offset1:91
	ds_write2_b32 v135, v79, v70 offset0:98 offset1:105
	ds_write_b32 v135, v64 offset:448
	s_and_saveexec_b64 s[6:7], s[0:1]
	s_cbranch_execz .LBB0_20
; %bb.19:
	v_sub_f32_e32 v35, v74, v35
	v_add_f32_e32 v59, v75, v133
	v_mul_f32_e32 v63, 0xbeb8f4ab, v35
	s_mov_b32 s12, 0x3f6eb680
	v_mul_f32_e32 v65, 0xbf2c7751, v35
	s_mov_b32 s8, 0x3f3d2fb0
	v_mul_f32_e32 v68, 0xbf65296c, v35
	s_mov_b32 s1, 0x3ee437d1
	v_mul_f32_e32 v70, 0xbf7ee86f, v35
	s_mov_b32 s0, 0x3dbcf732
	v_mul_f32_e32 v72, 0xbf763a35, v35
	s_mov_b32 s9, 0xbe8c1d8e
	v_mul_f32_e32 v74, 0xbf4c4adb, v35
	s_mov_b32 s13, 0xbf1a4643
	v_mul_f32_e32 v76, 0xbf06c442, v35
	s_mov_b32 s14, 0xbf59a7d5
	v_mul_f32_e32 v35, 0xbe3c28d5, v35
	s_mov_b32 s15, 0xbf7ba420
	v_add_f32_e32 v57, v14, v75
	v_fmamk_f32 v64, v59, 0x3f6eb680, v63
	v_fma_f32 v63, v59, s12, -v63
	v_fmamk_f32 v67, v59, 0x3f3d2fb0, v65
	v_fma_f32 v65, v59, s8, -v65
	;; [unrolled: 2-line block ×8, first 2 shown]
	v_sub_f32_e32 v34, v58, v34
	v_add_f32_e32 v64, v14, v64
	v_add_f32_e32 v63, v14, v63
	;; [unrolled: 1-line block ×17, first 2 shown]
	v_mul_f32_e32 v58, 0xbf2c7751, v34
	v_fmamk_f32 v59, v35, 0x3f3d2fb0, v58
	v_fma_f32 v58, v35, s8, -v58
	v_add_f32_e32 v58, v58, v63
	v_mul_f32_e32 v63, 0xbf7ee86f, v34
	v_add_f32_e32 v59, v59, v64
	v_fmamk_f32 v64, v35, 0x3dbcf732, v63
	v_fma_f32 v63, v35, s0, -v63
	v_add_f32_e32 v63, v63, v65
	v_mul_f32_e32 v65, 0xbf4c4adb, v34
	v_add_f32_e32 v57, v57, v66
	v_add_f32_e32 v64, v64, v67
	v_fmamk_f32 v66, v35, 0xbf1a4643, v65
	v_fma_f32 v65, v35, s13, -v65
	v_mul_f32_e32 v67, 0xbe3c28d5, v34
	v_add_f32_e32 v66, v66, v69
	v_add_f32_e32 v65, v65, v68
	v_fmamk_f32 v68, v35, 0xbf7ba420, v67
	v_fma_f32 v67, v35, s15, -v67
	v_mul_f32_e32 v69, 0x3f06c442, v34
	v_add_f32_e32 v68, v68, v71
	v_add_f32_e32 v67, v67, v70
	v_fmamk_f32 v70, v35, 0xbf59a7d5, v69
	v_fma_f32 v69, v35, s14, -v69
	v_mul_f32_e32 v71, 0x3f763a35, v34
	v_add_f32_e32 v70, v70, v73
	v_add_f32_e32 v69, v69, v72
	v_fmamk_f32 v72, v35, 0xbe8c1d8e, v71
	v_fma_f32 v71, v35, s9, -v71
	v_mul_f32_e32 v73, 0x3f65296c, v34
	v_mul_f32_e32 v34, 0x3eb8f4ab, v34
	v_add_f32_e32 v72, v72, v75
	v_add_f32_e32 v71, v71, v74
	v_fmamk_f32 v74, v35, 0x3ee437d1, v73
	v_fma_f32 v73, v35, s1, -v73
	v_fmamk_f32 v75, v35, 0x3f6eb680, v34
	v_fma_f32 v34, v35, s12, -v34
	v_sub_f32_e32 v35, v53, v37
	v_add_f32_e32 v14, v34, v14
	v_add_f32_e32 v34, v56, v120
	v_mul_f32_e32 v37, 0xbf65296c, v35
	v_add_f32_e32 v57, v57, v56
	v_fmamk_f32 v53, v34, 0x3ee437d1, v37
	v_fma_f32 v37, v34, s1, -v37
	v_mul_f32_e32 v56, 0xbf4c4adb, v35
	v_add_f32_e32 v53, v53, v59
	v_add_f32_e32 v37, v37, v58
	v_fmamk_f32 v58, v34, 0xbf1a4643, v56
	v_fma_f32 v56, v34, s13, -v56
	v_mul_f32_e32 v59, 0x3e3c28d5, v35
	v_add_f32_e32 v58, v58, v64
	;; [unrolled: 5-line block ×5, first 2 shown]
	v_add_f32_e32 v66, v66, v69
	v_fmamk_f32 v69, v34, 0x3f6eb680, v68
	v_fma_f32 v68, v34, s12, -v68
	v_mul_f32_e32 v70, 0xbf7ee86f, v35
	v_mul_f32_e32 v35, 0xbf06c442, v35
	v_add_f32_e32 v69, v69, v72
	v_add_f32_e32 v68, v68, v71
	v_fmamk_f32 v71, v34, 0x3dbcf732, v70
	v_fma_f32 v70, v34, s0, -v70
	v_fmamk_f32 v72, v34, 0xbf59a7d5, v35
	v_fma_f32 v34, v34, s14, -v35
	v_sub_f32_e32 v35, v49, v36
	v_add_f32_e32 v14, v34, v14
	v_add_f32_e32 v34, v52, v114
	v_mul_f32_e32 v36, 0xbf7ee86f, v35
	v_fmamk_f32 v49, v34, 0x3dbcf732, v36
	v_fma_f32 v36, v34, s0, -v36
	v_add_f32_e32 v36, v36, v37
	v_mul_f32_e32 v37, 0xbe3c28d5, v35
	v_add_f32_e32 v57, v57, v52
	v_add_f32_e32 v49, v49, v53
	v_fmamk_f32 v52, v34, 0xbf7ba420, v37
	v_fma_f32 v37, v34, s15, -v37
	v_mul_f32_e32 v53, 0x3f763a35, v35
	v_add_f32_e32 v52, v52, v58
	v_add_f32_e32 v37, v37, v56
	v_fmamk_f32 v56, v34, 0xbe8c1d8e, v53
	v_fma_f32 v53, v34, s9, -v53
	;; [unrolled: 5-line block ×5, first 2 shown]
	v_mul_f32_e32 v67, 0x3f4c4adb, v35
	v_mul_f32_e32 v35, 0x3f2c7751, v35
	v_add_f32_e32 v66, v66, v69
	v_add_f32_e32 v65, v65, v68
	v_fmamk_f32 v68, v34, 0xbf1a4643, v67
	v_fma_f32 v67, v34, s13, -v67
	v_fmamk_f32 v69, v34, 0x3f3d2fb0, v35
	v_fma_f32 v34, v34, s8, -v35
	v_sub_f32_e32 v35, v47, v39
	v_add_f32_e32 v14, v34, v14
	v_add_f32_e32 v34, v48, v110
	v_mul_f32_e32 v39, 0xbf763a35, v35
	v_fmamk_f32 v47, v34, 0xbe8c1d8e, v39
	v_fma_f32 v39, v34, s9, -v39
	v_add_f32_e32 v36, v39, v36
	v_mul_f32_e32 v39, 0x3f06c442, v35
	v_add_f32_e32 v57, v57, v48
	v_fmamk_f32 v48, v34, 0xbf59a7d5, v39
	v_fma_f32 v39, v34, s14, -v39
	v_add_f32_e32 v37, v39, v37
	v_mul_f32_e32 v39, 0x3f2c7751, v35
	v_add_f32_e32 v47, v47, v49
	v_add_f32_e32 v48, v48, v52
	v_fmamk_f32 v49, v34, 0x3f3d2fb0, v39
	v_fma_f32 v39, v34, s8, -v39
	v_mul_f32_e32 v52, 0xbf65296c, v35
	v_add_f32_e32 v49, v49, v56
	v_add_f32_e32 v39, v39, v53
	v_fmamk_f32 v53, v34, 0x3ee437d1, v52
	v_fma_f32 v52, v34, s1, -v52
	;; [unrolled: 5-line block ×4, first 2 shown]
	v_mul_f32_e32 v64, 0xbeb8f4ab, v35
	v_mul_f32_e32 v35, 0xbf4c4adb, v35
	v_add_f32_e32 v63, v63, v66
	v_add_f32_e32 v59, v59, v65
	v_fmamk_f32 v65, v34, 0x3f6eb680, v64
	v_fma_f32 v64, v34, s12, -v64
	v_fmamk_f32 v66, v34, 0xbf1a4643, v35
	v_fma_f32 v34, v34, s13, -v35
	v_sub_f32_e32 v35, v43, v38
	v_add_f32_e32 v14, v34, v14
	v_add_f32_e32 v34, v46, v104
	v_mul_f32_e32 v38, 0xbf4c4adb, v35
	v_fmamk_f32 v43, v34, 0xbf1a4643, v38
	v_fma_f32 v38, v34, s13, -v38
	v_add_f32_e32 v36, v38, v36
	v_mul_f32_e32 v38, 0x3f763a35, v35
	v_add_f32_e32 v57, v57, v46
	v_fmamk_f32 v46, v34, 0xbe8c1d8e, v38
	v_fma_f32 v38, v34, s9, -v38
	v_add_f32_e32 v37, v38, v37
	v_mul_f32_e32 v38, 0xbeb8f4ab, v35
	v_add_f32_e32 v43, v43, v47
	;; [unrolled: 5-line block ×3, first 2 shown]
	v_add_f32_e32 v47, v47, v49
	v_fmamk_f32 v48, v34, 0xbf59a7d5, v39
	v_fma_f32 v39, v34, s14, -v39
	v_mul_f32_e32 v49, 0x3f7ee86f, v35
	v_add_f32_e32 v48, v48, v53
	v_add_f32_e32 v39, v39, v52
	v_fmamk_f32 v52, v34, 0x3dbcf732, v49
	v_fma_f32 v49, v34, s0, -v49
	v_mul_f32_e32 v53, 0xbf2c7751, v35
	v_add_f32_e32 v52, v52, v58
	v_add_f32_e32 v49, v49, v56
	v_fmamk_f32 v56, v34, 0x3f3d2fb0, v53
	v_fma_f32 v53, v34, s8, -v53
	v_mul_f32_e32 v58, 0xbe3c28d5, v35
	v_mul_f32_e32 v35, 0x3f65296c, v35
	v_add_f32_e32 v56, v56, v63
	v_add_f32_e32 v53, v53, v59
	v_fmamk_f32 v59, v34, 0xbf7ba420, v58
	v_fma_f32 v58, v34, s15, -v58
	v_fmamk_f32 v63, v34, 0x3ee437d1, v35
	v_fma_f32 v34, v34, s1, -v35
	v_sub_f32_e32 v31, v31, v84
	v_add_f32_e32 v14, v34, v14
	v_add_f32_e32 v34, v42, v86
	v_mul_f32_e32 v35, 0xbf06c442, v31
	v_add_f32_e32 v57, v57, v42
	v_fmamk_f32 v42, v34, 0xbf59a7d5, v35
	v_fma_f32 v35, v34, s14, -v35
	v_add_f32_e32 v35, v35, v36
	v_mul_f32_e32 v36, 0x3f65296c, v31
	v_add_f32_e32 v42, v42, v43
	v_fmamk_f32 v43, v34, 0x3ee437d1, v36
	v_fma_f32 v36, v34, s1, -v36
	;; [unrolled: 5-line block ×4, first 2 shown]
	v_add_f32_e32 v38, v38, v39
	v_mul_f32_e32 v39, 0xbeb8f4ab, v31
	v_add_f32_e32 v73, v73, v76
	v_add_f32_e32 v47, v47, v48
	v_fmamk_f32 v48, v34, 0x3f6eb680, v39
	v_fma_f32 v39, v34, s12, -v39
	v_add_f32_e32 v70, v70, v73
	v_add_f32_e32 v39, v39, v49
	v_mul_f32_e32 v49, 0xbe3c28d5, v31
	v_add_f32_e32 v67, v67, v70
	v_add_f32_e32 v48, v48, v52
	v_fmamk_f32 v52, v34, 0xbf7ba420, v49
	v_fma_f32 v49, v34, s15, -v49
	v_add_f32_e32 v64, v64, v67
	v_add_f32_e32 v49, v49, v53
	v_mul_f32_e32 v53, 0x3f2c7751, v31
	v_add_f32_e32 v58, v58, v64
	v_add_f32_e32 v52, v52, v56
	v_fmamk_f32 v56, v34, 0x3f3d2fb0, v53
	v_fma_f32 v53, v34, s8, -v53
	v_mul_f32_e32 v31, 0xbf763a35, v31
	v_add_f32_e32 v53, v53, v58
	v_fmamk_f32 v58, v34, 0xbe8c1d8e, v31
	v_fma_f32 v31, v34, s9, -v31
	v_sub_f32_e32 v15, v15, v78
	v_add_f32_e32 v57, v57, v30
	v_add_f32_e32 v14, v31, v14
	v_add_f32_e32 v30, v30, v80
	v_mul_f32_e32 v31, 0xbe3c28d5, v15
	v_fmamk_f32 v34, v30, 0xbf7ba420, v31
	v_fma_f32 v31, v30, s15, -v31
	v_add_f32_e32 v31, v31, v35
	v_mul_f32_e32 v35, 0x3eb8f4ab, v15
	v_add_f32_e32 v34, v34, v42
	v_fmamk_f32 v42, v30, 0x3f6eb680, v35
	v_fma_f32 v35, v30, s12, -v35
	v_add_f32_e32 v35, v35, v36
	v_mul_f32_e32 v36, 0xbf06c442, v15
	v_add_f32_e32 v42, v42, v43
	;; [unrolled: 5-line block ×5, first 2 shown]
	v_add_f32_e32 v47, v47, v48
	v_fmamk_f32 v48, v30, 0x3ee437d1, v39
	v_fma_f32 v39, v30, s1, -v39
	v_add_f32_e32 v57, v57, v86
	v_add_f32_e32 v39, v39, v49
	v_mul_f32_e32 v49, 0xbf763a35, v15
	v_add_f32_e32 v57, v57, v104
	v_add_f32_e32 v74, v74, v77
	;; [unrolled: 1-line block ×3, first 2 shown]
	v_fmamk_f32 v52, v30, 0xbe8c1d8e, v49
	v_fma_f32 v49, v30, s9, -v49
	v_mul_f32_e32 v15, 0x3f7ee86f, v15
	v_add_f32_e32 v57, v57, v110
	v_add_f32_e32 v75, v75, v79
	;; [unrolled: 1-line block ×4, first 2 shown]
	v_fmamk_f32 v53, v30, 0x3dbcf732, v15
	v_fma_f32 v15, v30, s0, -v15
	v_add_f32_e32 v57, v57, v114
	v_add_f32_e32 v72, v72, v75
	;; [unrolled: 1-line block ×4, first 2 shown]
	v_mov_b32_e32 v15, 2
	v_add_f32_e32 v57, v57, v120
	v_add_f32_e32 v69, v69, v72
	;; [unrolled: 1-line block ×3, first 2 shown]
	v_lshlrev_b32_sdwa v13, v15, v13 dst_sel:DWORD dst_unused:UNUSED_PAD src0_sel:DWORD src1_sel:BYTE_0
	v_add_f32_e32 v57, v57, v132
	v_add_f32_e32 v66, v66, v69
	;; [unrolled: 1-line block ×3, first 2 shown]
	v_add3_u32 v13, 0, v13, v123
	v_add_f32_e32 v57, v57, v133
	v_add_f32_e32 v63, v63, v66
	;; [unrolled: 1-line block ×3, first 2 shown]
	v_add_u32_e32 v15, 0x400, v13
	v_add_f32_e32 v58, v58, v63
	v_add_f32_e32 v52, v52, v56
	ds_write2_b32 v15, v57, v34 offset0:220 offset1:227
	ds_write2_b32 v15, v42, v43 offset0:234 offset1:241
	;; [unrolled: 1-line block ×3, first 2 shown]
	v_add_u32_e32 v15, 0x800, v13
	v_add_f32_e32 v53, v53, v58
	ds_write2_b32 v15, v48, v52 offset0:6 offset1:13
	ds_write2_b32 v15, v53, v14 offset0:20 offset1:27
	;; [unrolled: 1-line block ×5, first 2 shown]
	ds_write_b32 v13, v31 offset:2352
.LBB0_20:
	s_or_b64 exec, exec, s[6:7]
	s_waitcnt lgkmcnt(0)
	; wave barrier
	s_waitcnt lgkmcnt(0)
	s_and_saveexec_b64 s[0:1], vcc
	s_cbranch_execz .LBB0_22
; %bb.21:
	v_mov_b32_e32 v15, 0
	v_mov_b32_e32 v13, v15
	v_lshl_add_u64 v[30:31], v[12:13], 3, s[4:5]
	global_load_dwordx4 v[84:87], v[30:31], off offset:896
	global_load_dwordx4 v[90:93], v[30:31], off offset:912
	v_add_u32_e32 v14, 0x198, v12
	v_mul_lo_u32 v13, s3, v10
	v_mul_lo_u32 v34, s2, v11
	v_mad_u64_u32 v[70:71], s[0:1], s2, v10, 0
	v_add_u32_e32 v58, 0x400, v125
	v_add_u32_e32 v56, 0x800, v125
	;; [unrolled: 1-line block ×3, first 2 shown]
	v_lshl_add_u64 v[46:47], v[14:15], 3, s[4:5]
	v_add_u32_e32 v14, 0x154, v12
	ds_read2_b32 v[30:31], v125 offset0:221 offset1:238
	ds_read2_b32 v[10:11], v125 offset0:85 offset1:102
	;; [unrolled: 1-line block ×7, first 2 shown]
	ds_read_b32 v63, v124
	v_add3_u32 v71, v71, v34, v13
	ds_read2_b32 v[38:39], v58 offset0:67 offset1:84
	ds_read2_b32 v[34:35], v56 offset0:49 offset1:66
	;; [unrolled: 1-line block ×10, first 2 shown]
	v_lshl_add_u64 v[58:59], v[14:15], 3, s[4:5]
	v_add_u32_e32 v14, 0x110, v12
	v_lshl_add_u64 v[94:95], v[70:71], 3, s[10:11]
	v_lshl_add_u64 v[70:71], v[14:15], 3, s[4:5]
	v_add_u32_e32 v14, 0xcc, v12
	v_lshl_add_u64 v[12:13], v[14:15], 3, s[4:5]
	v_lshlrev_b32_e32 v14, 2, v82
	v_lshl_add_u64 v[82:83], v[14:15], 3, s[4:5]
	v_lshlrev_b32_e32 v14, 2, v88
	v_lshl_add_u64 v[110:111], v[14:15], 3, s[4:5]
	v_lshl_add_u64 v[8:9], v[8:9], 3, v[94:95]
	global_load_dwordx4 v[94:97], v[110:111], off offset:912
	global_load_dwordx4 v[98:101], v[110:111], off offset:896
	s_mov_b32 s3, 0x44d72045
	s_waitcnt lgkmcnt(14)
	v_mov_b32_e32 v88, v31
	v_mov_b32_e32 v102, v1
	;; [unrolled: 1-line block ×3, first 2 shown]
	v_mul_hi_u32 v1, v122, s3
	s_movk_i32 s1, 0x77
	v_lshrrev_b32_e32 v1, 5, v1
	s_waitcnt lgkmcnt(7)
	v_mov_b32_e32 v112, v37
	v_mov_b32_e32 v106, v3
	;; [unrolled: 1-line block ×3, first 2 shown]
	v_mul_lo_u32 v1, v1, s1
	v_sub_u32_e32 v1, v122, v1
	v_lshlrev_b32_e32 v14, 3, v1
	s_mov_b32 s0, 0x3f737871
	v_lshl_add_u64 v[114:115], v[8:9], 0, v[14:15]
	s_mov_b32 s4, 0x3f167918
	s_mov_b32 s2, 0x3e9e377a
	v_add_u32_e32 v1, 17, v122
	v_mul_hi_u32 v3, v1, s3
	v_lshrrev_b32_e32 v3, 5, v3
	v_mul_lo_u32 v14, v3, s1
	v_sub_u32_e32 v14, v1, v14
	v_add_u32_e32 v1, 34, v122
	s_waitcnt vmcnt(3)
	v_mov_b32_e32 v110, v87
	v_mov_b32_e32 v111, v86
	v_pk_mul_f32 v[116:117], v[78:79], v[84:85] op_sel:[0,1] op_sel_hi:[0,0]
	v_pk_mul_f32 v[88:89], v[88:89], v[110:111] op_sel_hi:[0,1]
	v_pk_fma_f32 v[110:111], v[54:55], v[84:85], v[116:117] neg_lo:[0,0,1] neg_hi:[0,0,1]
	v_pk_fma_f32 v[84:85], v[54:55], v[84:85], v[116:117] op_sel_hi:[0,1,1]
	s_waitcnt vmcnt(2) lgkmcnt(0)
	v_pk_mul_f32 v[118:119], v[80:81], v[90:91] op_sel:[0,1] op_sel_hi:[0,0]
	v_mov_b32_e32 v120, v93
	v_mov_b32_e32 v121, v92
	v_pk_fma_f32 v[102:103], v[102:103], v[86:87], v[88:89] neg_lo:[0,0,1] neg_hi:[0,0,1]
	v_pk_fma_f32 v[86:87], v[104:105], v[86:87], v[88:89] op_sel_hi:[0,1,1]
	v_mov_b32_e32 v111, v85
	v_pk_fma_f32 v[116:117], v[60:61], v[90:91], v[118:119] neg_lo:[0,0,1] neg_hi:[0,0,1]
	v_pk_fma_f32 v[90:91], v[60:61], v[90:91], v[118:119] op_sel_hi:[0,1,1]
	v_pk_mul_f32 v[112:113], v[112:113], v[120:121] op_sel_hi:[0,1]
	v_mov_b32_e32 v103, v87
	v_pk_add_f32 v[86:87], v[62:63], v[110:111]
	v_mov_b32_e32 v117, v91
	v_pk_fma_f32 v[84:85], v[106:107], v[92:93], v[112:113] neg_lo:[0,0,1] neg_hi:[0,0,1]
	v_pk_fma_f32 v[88:89], v[108:109], v[92:93], v[112:113] op_sel_hi:[0,1,1]
	v_pk_add_f32 v[86:87], v[86:87], v[102:103]
	v_mov_b32_e32 v85, v89
	v_pk_add_f32 v[86:87], v[86:87], v[116:117]
	v_pk_add_f32 v[88:89], v[102:103], v[116:117]
	v_pk_add_f32 v[90:91], v[110:111], v[84:85] neg_lo:[0,1] neg_hi:[0,1]
	v_pk_add_f32 v[86:87], v[84:85], v[86:87]
	v_pk_fma_f32 v[88:89], v[88:89], 0.5, v[62:63] op_sel_hi:[1,0,1] neg_lo:[1,0,0] neg_hi:[1,0,0]
	v_pk_mul_f32 v[92:93], v[90:91], s[0:1] op_sel_hi:[1,0]
	global_store_dwordx2 v[114:115], v[86:87], off
	v_pk_add_f32 v[86:87], v[102:103], v[116:117] neg_lo:[0,1] neg_hi:[0,1]
	v_pk_add_f32 v[106:107], v[110:111], v[102:103] neg_lo:[0,1] neg_hi:[0,1]
	;; [unrolled: 1-line block ×3, first 2 shown]
	v_pk_mul_f32 v[104:105], v[86:87], s[4:5] op_sel_hi:[1,0]
	v_pk_add_f32 v[106:107], v[106:107], v[108:109]
	v_pk_add_f32 v[108:109], v[88:89], v[92:93] op_sel:[0,1] op_sel_hi:[1,0]
	v_pk_add_f32 v[88:89], v[88:89], v[92:93] op_sel:[0,1] op_sel_hi:[1,0] neg_lo:[0,1] neg_hi:[0,1]
	v_pk_add_f32 v[92:93], v[108:109], v[104:105] op_sel:[0,1] op_sel_hi:[1,0]
	v_pk_add_f32 v[88:89], v[88:89], v[104:105] op_sel:[0,1] op_sel_hi:[1,0] neg_lo:[0,1] neg_hi:[0,1]
	v_mov_b32_e32 v104, v92
	v_mov_b32_e32 v105, v89
	v_pk_fma_f32 v[104:105], v[106:107], s[2:3], v[104:105] op_sel_hi:[1,0,1]
	global_store_dwordx2 v[114:115], v[104:105], off offset:952
	v_pk_add_f32 v[104:105], v[116:117], v[84:85] neg_lo:[0,1] neg_hi:[0,1]
	v_pk_add_f32 v[84:85], v[110:111], v[84:85]
	v_pk_add_f32 v[102:103], v[102:103], v[110:111] neg_lo:[0,1] neg_hi:[0,1]
	v_pk_fma_f32 v[62:63], v[84:85], 0.5, v[62:63] op_sel_hi:[1,0,1] neg_lo:[1,0,0] neg_hi:[1,0,0]
	v_pk_mul_f32 v[84:85], v[86:87], s[0:1] op_sel_hi:[1,0]
	v_pk_mul_f32 v[86:87], v[90:91], s[4:5] op_sel_hi:[1,0]
	v_pk_add_f32 v[90:91], v[62:63], v[84:85] op_sel:[0,1] op_sel_hi:[1,0] neg_lo:[0,1] neg_hi:[0,1]
	v_pk_add_f32 v[62:63], v[62:63], v[84:85] op_sel:[0,1] op_sel_hi:[1,0]
	v_pk_add_f32 v[84:85], v[90:91], v[86:87] op_sel:[0,1] op_sel_hi:[1,0]
	v_pk_add_f32 v[62:63], v[62:63], v[86:87] op_sel:[0,1] op_sel_hi:[1,0] neg_lo:[0,1] neg_hi:[0,1]
	v_pk_add_f32 v[102:103], v[102:103], v[104:105]
	v_mov_b32_e32 v87, v63
	v_mov_b32_e32 v63, v85
	v_pk_fma_f32 v[62:63], v[102:103], s[2:3], v[62:63] op_sel_hi:[1,0,1]
	v_mov_b32_e32 v89, v93
	global_store_dwordx2 v[114:115], v[62:63], off offset:2856
	v_pk_fma_f32 v[62:63], v[106:107], s[2:3], v[88:89] op_sel_hi:[1,0,1]
	s_movk_i32 s5, 0x253
	global_store_dwordx2 v[114:115], v[62:63], off offset:3808
	v_mad_u64_u32 v[62:63], s[6:7], v3, s5, v[14:15]
	v_add_u32_e32 v14, 0x77, v62
	v_lshl_add_u64 v[90:91], v[14:15], 3, v[8:9]
	v_add_u32_e32 v14, 0xee, v62
	v_mov_b32_e32 v86, v84
	v_mov_b32_e32 v63, v15
	v_lshl_add_u64 v[92:93], v[14:15], 3, v[8:9]
	v_add_u32_e32 v14, 0x165, v62
	v_pk_fma_f32 v[86:87], v[102:103], s[2:3], v[86:87] op_sel_hi:[1,0,1]
	v_lshl_add_u64 v[88:89], v[62:63], 3, v[8:9]
	v_lshl_add_u64 v[102:103], v[14:15], 3, v[8:9]
	v_add_u32_e32 v14, 0x1dc, v62
	s_waitcnt vmcnt(4)
	v_mov_b32_e32 v62, v101
	v_mov_b32_e32 v63, v100
	v_pk_mul_f32 v[62:63], v[76:77], v[62:63] op_sel_hi:[0,1]
	global_store_dwordx2 v[114:115], v[86:87], off offset:1904
	v_pk_fma_f32 v[106:107], v[50:51], v[100:101], v[62:63] neg_lo:[0,0,1] neg_hi:[0,0,1]
	v_pk_fma_f32 v[62:63], v[50:51], v[100:101], v[62:63] op_sel_hi:[0,1,1]
	v_lshl_add_u64 v[104:105], v[14:15], 3, v[8:9]
	v_mov_b32_e32 v107, v63
	v_mov_b32_e32 v14, v61
	;; [unrolled: 1-line block ×3, first 2 shown]
	global_load_dwordx4 v[60:63], v[82:83], off offset:912
	global_load_dwordx4 v[84:87], v[82:83], off offset:896
	v_mov_b32_e32 v54, v81
	v_pk_mul_f32 v[80:81], v[54:55], v[94:95] op_sel:[0,1] op_sel_hi:[0,0]
	v_mov_b32_e32 v54, v79
	v_pk_fma_f32 v[82:83], v[14:15], v[94:95], v[80:81] neg_lo:[0,0,1] neg_hi:[0,0,1]
	v_pk_fma_f32 v[80:81], v[50:51], v[94:95], v[80:81] op_sel_hi:[0,1,1]
	v_mov_b32_e32 v14, v55
	v_mov_b32_e32 v50, v55
	v_pk_mul_f32 v[54:55], v[54:55], v[98:99] op_sel:[0,1] op_sel_hi:[0,0]
	v_pk_fma_f32 v[78:79], v[14:15], v[98:99], v[54:55] neg_lo:[0,0,1] neg_hi:[0,0,1]
	v_pk_fma_f32 v[54:55], v[50:51], v[98:99], v[54:55] op_sel_hi:[0,1,1]
	v_mov_b32_e32 v79, v55
	v_mov_b32_e32 v54, v97
	;; [unrolled: 1-line block ×3, first 2 shown]
	v_pk_mul_f32 v[54:55], v[74:75], v[54:55] op_sel_hi:[0,1]
	v_mov_b32_e32 v83, v81
	v_pk_fma_f32 v[80:81], v[44:45], v[96:97], v[54:55] neg_lo:[0,0,1] neg_hi:[0,0,1]
	v_pk_fma_f32 v[54:55], v[44:45], v[96:97], v[54:55] op_sel_hi:[0,1,1]
	v_mov_b32_e32 v81, v55
	v_pk_add_f32 v[54:55], v[78:79], v[106:107] neg_lo:[0,1] neg_hi:[0,1]
	v_pk_add_f32 v[94:95], v[80:81], v[82:83] neg_lo:[0,1] neg_hi:[0,1]
	v_mov_b32_e32 v96, v40
	v_pk_add_f32 v[54:55], v[54:55], v[94:95]
	v_pk_add_f32 v[94:95], v[106:107], v[82:83]
	v_mov_b32_e32 v97, v72
	v_pk_fma_f32 v[94:95], v[94:95], 0.5, v[96:97] op_sel_hi:[1,0,1] neg_lo:[1,0,0] neg_hi:[1,0,0]
	v_pk_add_f32 v[98:99], v[78:79], v[80:81] neg_lo:[0,1] neg_hi:[0,1]
	v_pk_add_f32 v[108:109], v[106:107], v[82:83] neg_lo:[0,1] neg_hi:[0,1]
	v_pk_fma_f32 v[100:101], v[98:99], s[0:1], v[94:95] op_sel:[1,0,0] op_sel_hi:[0,0,1] neg_lo:[1,0,0] neg_hi:[1,0,0]
	v_pk_fma_f32 v[94:95], v[98:99], s[0:1], v[94:95] op_sel:[1,0,0] op_sel_hi:[0,0,1]
	v_pk_fma_f32 v[94:95], v[108:109], s[4:5], v[94:95] op_sel:[1,0,0] op_sel_hi:[0,0,1]
	v_pk_fma_f32 v[100:101], v[108:109], s[4:5], v[100:101] op_sel:[1,0,0] op_sel_hi:[0,0,1] neg_lo:[1,0,0] neg_hi:[1,0,0]
	v_mov_b32_e32 v110, v100
	v_mov_b32_e32 v111, v95
	;; [unrolled: 1-line block ×3, first 2 shown]
	v_pk_fma_f32 v[110:111], v[54:55], s[2:3], v[110:111] op_sel_hi:[1,0,1]
	v_pk_add_f32 v[112:113], v[96:97], v[78:79]
	v_pk_fma_f32 v[54:55], v[54:55], s[2:3], v[94:95] op_sel_hi:[1,0,1]
	v_pk_add_f32 v[112:113], v[112:113], v[106:107]
	global_store_dwordx2 v[90:91], v[54:55], off
	v_pk_add_f32 v[54:55], v[106:107], v[78:79] neg_lo:[0,1] neg_hi:[0,1]
	v_pk_add_f32 v[78:79], v[78:79], v[80:81]
	v_pk_add_f32 v[112:113], v[112:113], v[82:83]
	v_pk_fma_f32 v[78:79], v[78:79], 0.5, v[96:97] op_sel_hi:[1,0,1] neg_lo:[1,0,0] neg_hi:[1,0,0]
	v_pk_add_f32 v[112:113], v[80:81], v[112:113]
	v_pk_add_f32 v[82:83], v[82:83], v[80:81] neg_lo:[0,1] neg_hi:[0,1]
	v_pk_fma_f32 v[80:81], v[108:109], s[0:1], v[78:79] op_sel:[1,0,0] op_sel_hi:[0,0,1]
	v_pk_fma_f32 v[78:79], v[108:109], s[0:1], v[78:79] op_sel:[1,0,0] op_sel_hi:[0,0,1] neg_lo:[1,0,0] neg_hi:[1,0,0]
	v_pk_fma_f32 v[78:79], v[98:99], s[4:5], v[78:79] op_sel:[1,0,0] op_sel_hi:[0,0,1]
	v_pk_fma_f32 v[80:81], v[98:99], s[4:5], v[80:81] op_sel:[1,0,0] op_sel_hi:[0,0,1] neg_lo:[1,0,0] neg_hi:[1,0,0]
	v_pk_add_f32 v[54:55], v[54:55], v[82:83]
	v_mov_b32_e32 v82, v80
	v_mov_b32_e32 v83, v79
	;; [unrolled: 1-line block ×3, first 2 shown]
	v_pk_fma_f32 v[82:83], v[54:55], s[2:3], v[82:83] op_sel_hi:[1,0,1]
	v_pk_fma_f32 v[54:55], v[54:55], s[2:3], v[78:79] op_sel_hi:[1,0,1]
	global_store_dwordx2 v[88:89], v[112:113], off
	global_store_dwordx2 v[92:93], v[54:55], off
	;; [unrolled: 1-line block ×4, first 2 shown]
	v_mov_b32_e32 v44, v77
	global_load_dwordx4 v[76:79], v[12:13], off offset:912
	global_load_dwordx4 v[80:83], v[12:13], off offset:896
	v_mul_hi_u32 v3, v1, s3
	v_lshrrev_b32_e32 v3, 5, v3
	v_mul_lo_u32 v14, v3, s1
	v_sub_u32_e32 v14, v1, v14
	v_mad_u64_u32 v[54:55], s[6:7], v3, s5, v[14:15]
	v_add_u32_e32 v14, 0x77, v54
	v_lshl_add_u64 v[90:91], v[14:15], 3, v[8:9]
	v_add_u32_e32 v14, 0xee, v54
	v_lshl_add_u64 v[92:93], v[14:15], 3, v[8:9]
	v_add_u32_e32 v14, 0x165, v54
	v_mov_b32_e32 v55, v15
	v_lshl_add_u64 v[94:95], v[14:15], 3, v[8:9]
	v_add_u32_e32 v14, 0x1dc, v54
	v_lshl_add_u64 v[88:89], v[54:55], 3, v[8:9]
	v_lshl_add_u64 v[54:55], v[14:15], 3, v[8:9]
	v_mov_b32_e32 v14, v51
	v_mov_b32_e32 v40, v51
	;; [unrolled: 1-line block ×3, first 2 shown]
	v_add_u32_e32 v1, 51, v122
	s_waitcnt vmcnt(7)
	v_mov_b32_e32 v50, v87
	v_mov_b32_e32 v51, v86
	v_pk_mul_f32 v[12:13], v[44:45], v[50:51] op_sel_hi:[0,1]
	v_pk_fma_f32 v[50:51], v[14:15], v[86:87], v[12:13] neg_lo:[0,0,1] neg_hi:[0,0,1]
	v_pk_fma_f32 v[12:13], v[40:41], v[86:87], v[12:13] op_sel_hi:[0,1,1]
	v_mov_b32_e32 v51, v13
	v_pk_mul_f32 v[12:13], v[68:69], v[60:61] op_sel:[0,1] op_sel_hi:[0,0]
	v_pk_fma_f32 v[86:87], v[32:33], v[60:61], v[12:13] neg_lo:[0,0,1] neg_hi:[0,0,1]
	v_pk_fma_f32 v[12:13], v[32:33], v[60:61], v[12:13] op_sel_hi:[0,1,1]
	v_mov_b32_e32 v87, v13
	v_pk_mul_f32 v[12:13], v[66:67], v[84:85] op_sel:[0,1] op_sel_hi:[0,0]
	v_pk_fma_f32 v[60:61], v[28:29], v[84:85], v[12:13] neg_lo:[0,0,1] neg_hi:[0,0,1]
	v_pk_fma_f32 v[12:13], v[28:29], v[84:85], v[12:13] op_sel_hi:[0,1,1]
	v_mov_b32_e32 v12, v45
	v_mov_b32_e32 v14, v45
	;; [unrolled: 1-line block ×5, first 2 shown]
	v_pk_mul_f32 v[44:45], v[28:29], v[44:45] op_sel_hi:[0,1]
	v_mov_b32_e32 v61, v13
	v_pk_fma_f32 v[12:13], v[12:13], v[62:63], v[44:45] neg_lo:[0,0,1] neg_hi:[0,0,1]
	v_pk_fma_f32 v[44:45], v[14:15], v[62:63], v[44:45] op_sel_hi:[0,1,1]
	v_mov_b32_e32 v13, v45
	v_pk_add_f32 v[44:45], v[60:61], v[50:51] neg_lo:[0,1] neg_hi:[0,1]
	v_pk_add_f32 v[62:63], v[12:13], v[86:87] neg_lo:[0,1] neg_hi:[0,1]
	;; [unrolled: 1-line block ×3, first 2 shown]
	v_pk_add_f32 v[44:45], v[44:45], v[62:63]
	v_pk_add_f32 v[62:63], v[50:51], v[86:87]
	;; [unrolled: 1-line block ×3, first 2 shown]
	v_pk_fma_f32 v[40:41], v[62:63], 0.5, v[72:73] op_sel_hi:[1,0,1] neg_lo:[1,0,0] neg_hi:[1,0,0]
	v_pk_add_f32 v[62:63], v[60:61], v[12:13] neg_lo:[0,1] neg_hi:[0,1]
	v_pk_add_f32 v[98:99], v[98:99], v[50:51]
	v_pk_fma_f32 v[74:75], v[62:63], s[0:1], v[40:41] op_sel:[1,0,0] op_sel_hi:[0,0,1] neg_lo:[1,0,0] neg_hi:[1,0,0]
	v_pk_fma_f32 v[40:41], v[62:63], s[0:1], v[40:41] op_sel:[1,0,0] op_sel_hi:[0,0,1]
	v_pk_fma_f32 v[40:41], v[84:85], s[4:5], v[40:41] op_sel:[1,0,0] op_sel_hi:[0,0,1]
	v_pk_fma_f32 v[74:75], v[84:85], s[4:5], v[74:75] op_sel:[1,0,0] op_sel_hi:[0,0,1] neg_lo:[1,0,0] neg_hi:[1,0,0]
	v_mov_b32_e32 v97, v41
	v_mov_b32_e32 v41, v75
	v_pk_fma_f32 v[40:41], v[44:45], s[2:3], v[40:41] op_sel_hi:[1,0,1]
	v_mov_b32_e32 v96, v74
	v_pk_add_f32 v[98:99], v[98:99], v[86:87]
	global_store_dwordx2 v[90:91], v[40:41], off
	v_pk_add_f32 v[40:41], v[60:61], v[12:13]
	v_pk_fma_f32 v[96:97], v[44:45], s[2:3], v[96:97] op_sel_hi:[1,0,1]
	v_pk_add_f32 v[98:99], v[12:13], v[98:99]
	v_pk_fma_f32 v[40:41], v[40:41], 0.5, v[72:73] op_sel_hi:[1,0,1] neg_lo:[1,0,0] neg_hi:[1,0,0]
	v_pk_add_f32 v[44:45], v[50:51], v[60:61] neg_lo:[0,1] neg_hi:[0,1]
	v_pk_add_f32 v[12:13], v[86:87], v[12:13] neg_lo:[0,1] neg_hi:[0,1]
	v_mul_hi_u32 v3, v1, s3
	v_pk_add_f32 v[12:13], v[44:45], v[12:13]
	v_pk_fma_f32 v[44:45], v[84:85], s[0:1], v[40:41] op_sel:[1,0,0] op_sel_hi:[0,0,1]
	v_pk_fma_f32 v[40:41], v[84:85], s[0:1], v[40:41] op_sel:[1,0,0] op_sel_hi:[0,0,1] neg_lo:[1,0,0] neg_hi:[1,0,0]
	v_pk_fma_f32 v[40:41], v[62:63], s[4:5], v[40:41] op_sel:[1,0,0] op_sel_hi:[0,0,1]
	v_pk_fma_f32 v[44:45], v[62:63], s[4:5], v[44:45] op_sel:[1,0,0] op_sel_hi:[0,0,1] neg_lo:[1,0,0] neg_hi:[1,0,0]
	v_mov_b32_e32 v50, v44
	v_mov_b32_e32 v51, v41
	;; [unrolled: 1-line block ×3, first 2 shown]
	v_pk_fma_f32 v[50:51], v[12:13], s[2:3], v[50:51] op_sel_hi:[1,0,1]
	v_pk_fma_f32 v[12:13], v[12:13], s[2:3], v[40:41] op_sel_hi:[1,0,1]
	v_lshrrev_b32_e32 v3, 5, v3
	global_store_dwordx2 v[88:89], v[98:99], off
	global_store_dwordx2 v[92:93], v[12:13], off
	;; [unrolled: 1-line block ×4, first 2 shown]
	v_mul_lo_u32 v12, v3, s1
	v_sub_u32_e32 v12, v1, v12
	v_mad_u64_u32 v[12:13], s[6:7], v3, s5, v[12:13]
	v_add_u32_e32 v14, 0x77, v12
	s_waitcnt vmcnt(5)
	v_mov_b32_e32 v60, v83
	v_mov_b32_e32 v61, v82
	v_lshl_add_u64 v[44:45], v[14:15], 3, v[8:9]
	v_add_u32_e32 v14, 0xee, v12
	v_pk_mul_f32 v[60:61], v[64:65], v[60:61] op_sel_hi:[0,1]
	v_lshl_add_u64 v[50:51], v[14:15], 3, v[8:9]
	v_add_u32_e32 v14, 0x165, v12
	v_pk_fma_f32 v[84:85], v[26:27], v[82:83], v[60:61] neg_lo:[0,0,1] neg_hi:[0,0,1]
	v_pk_fma_f32 v[60:61], v[26:27], v[82:83], v[60:61] op_sel_hi:[0,1,1]
	v_mov_b32_e32 v13, v15
	v_lshl_add_u64 v[54:55], v[14:15], 3, v[8:9]
	v_add_u32_e32 v14, 0x1dc, v12
	v_mov_b32_e32 v85, v61
	global_load_dwordx4 v[60:63], v[70:71], off offset:912
	global_load_dwordx4 v[72:75], v[70:71], off offset:896
	v_mov_b32_e32 v28, v69
	v_lshl_add_u64 v[40:41], v[12:13], 3, v[8:9]
	v_lshl_add_u64 v[12:13], v[14:15], 3, v[8:9]
	v_mov_b32_e32 v14, v33
	v_mov_b32_e32 v26, v33
	v_pk_mul_f32 v[32:33], v[28:29], v[76:77] op_sel:[0,1] op_sel_hi:[0,0]
	v_mov_b32_e32 v28, v67
	v_pk_fma_f32 v[68:69], v[14:15], v[76:77], v[32:33] neg_lo:[0,0,1] neg_hi:[0,0,1]
	v_pk_fma_f32 v[32:33], v[26:27], v[76:77], v[32:33] op_sel_hi:[0,1,1]
	v_mov_b32_e32 v14, v29
	v_mov_b32_e32 v26, v29
	v_pk_mul_f32 v[28:29], v[28:29], v[80:81] op_sel:[0,1] op_sel_hi:[0,0]
	v_mov_b32_e32 v69, v33
	v_pk_fma_f32 v[32:33], v[14:15], v[80:81], v[28:29] neg_lo:[0,0,1] neg_hi:[0,0,1]
	v_pk_fma_f32 v[28:29], v[26:27], v[80:81], v[28:29] op_sel_hi:[0,1,1]
	v_mov_b32_e32 v33, v29
	v_mov_b32_e32 v28, v79
	;; [unrolled: 1-line block ×3, first 2 shown]
	v_pk_mul_f32 v[28:29], v[56:57], v[28:29] op_sel_hi:[0,1]
	v_pk_fma_f32 v[66:67], v[24:25], v[78:79], v[28:29] neg_lo:[0,0,1] neg_hi:[0,0,1]
	v_pk_fma_f32 v[28:29], v[24:25], v[78:79], v[28:29] op_sel_hi:[0,1,1]
	v_mov_b32_e32 v67, v29
	v_pk_add_f32 v[28:29], v[32:33], v[84:85] neg_lo:[0,1] neg_hi:[0,1]
	v_pk_add_f32 v[70:71], v[66:67], v[68:69] neg_lo:[0,1] neg_hi:[0,1]
	v_mov_b32_e32 v76, v22
	v_pk_add_f32 v[28:29], v[28:29], v[70:71]
	v_pk_add_f32 v[70:71], v[84:85], v[68:69]
	v_mov_b32_e32 v77, v52
	v_pk_fma_f32 v[70:71], v[70:71], 0.5, v[76:77] op_sel_hi:[1,0,1] neg_lo:[1,0,0] neg_hi:[1,0,0]
	v_pk_add_f32 v[78:79], v[32:33], v[66:67] neg_lo:[0,1] neg_hi:[0,1]
	v_pk_add_f32 v[82:83], v[84:85], v[68:69] neg_lo:[0,1] neg_hi:[0,1]
	v_pk_fma_f32 v[80:81], v[78:79], s[0:1], v[70:71] op_sel:[1,0,0] op_sel_hi:[0,0,1] neg_lo:[1,0,0] neg_hi:[1,0,0]
	v_pk_fma_f32 v[70:71], v[78:79], s[0:1], v[70:71] op_sel:[1,0,0] op_sel_hi:[0,0,1]
	v_pk_fma_f32 v[70:71], v[82:83], s[4:5], v[70:71] op_sel:[1,0,0] op_sel_hi:[0,0,1]
	v_pk_fma_f32 v[80:81], v[82:83], s[4:5], v[80:81] op_sel:[1,0,0] op_sel_hi:[0,0,1] neg_lo:[1,0,0] neg_hi:[1,0,0]
	v_pk_add_f32 v[88:89], v[76:77], v[32:33]
	v_mov_b32_e32 v86, v80
	v_mov_b32_e32 v87, v71
	v_pk_add_f32 v[88:89], v[88:89], v[84:85]
	v_mov_b32_e32 v71, v81
	v_pk_fma_f32 v[86:87], v[28:29], s[2:3], v[86:87] op_sel_hi:[1,0,1]
	v_pk_add_f32 v[88:89], v[88:89], v[68:69]
	v_pk_fma_f32 v[28:29], v[28:29], s[2:3], v[70:71] op_sel_hi:[1,0,1]
	v_pk_add_f32 v[88:89], v[66:67], v[88:89]
	global_store_dwordx2 v[44:45], v[28:29], off
	v_pk_add_f32 v[28:29], v[84:85], v[32:33] neg_lo:[0,1] neg_hi:[0,1]
	v_pk_add_f32 v[32:33], v[32:33], v[66:67]
	global_store_dwordx2 v[40:41], v[88:89], off
	v_pk_add_f32 v[40:41], v[68:69], v[66:67] neg_lo:[0,1] neg_hi:[0,1]
	v_pk_fma_f32 v[32:33], v[32:33], 0.5, v[76:77] op_sel_hi:[1,0,1] neg_lo:[1,0,0] neg_hi:[1,0,0]
	v_pk_add_f32 v[28:29], v[28:29], v[40:41]
	v_pk_fma_f32 v[40:41], v[82:83], s[0:1], v[32:33] op_sel:[1,0,0] op_sel_hi:[0,0,1]
	v_pk_fma_f32 v[32:33], v[82:83], s[0:1], v[32:33] op_sel:[1,0,0] op_sel_hi:[0,0,1] neg_lo:[1,0,0] neg_hi:[1,0,0]
	v_pk_fma_f32 v[32:33], v[78:79], s[4:5], v[32:33] op_sel:[1,0,0] op_sel_hi:[0,0,1]
	v_pk_fma_f32 v[40:41], v[78:79], s[4:5], v[40:41] op_sel:[1,0,0] op_sel_hi:[0,0,1] neg_lo:[1,0,0] neg_hi:[1,0,0]
	v_add_u32_e32 v1, 0x44, v122
	v_mov_b32_e32 v44, v40
	v_mov_b32_e32 v45, v33
	;; [unrolled: 1-line block ×3, first 2 shown]
	v_mul_hi_u32 v3, v1, s3
	v_pk_fma_f32 v[44:45], v[28:29], s[2:3], v[44:45] op_sel_hi:[1,0,1]
	v_pk_fma_f32 v[28:29], v[28:29], s[2:3], v[32:33] op_sel_hi:[1,0,1]
	v_lshrrev_b32_e32 v3, 5, v3
	global_store_dwordx2 v[50:51], v[28:29], off
	global_store_dwordx2 v[54:55], v[44:45], off
	;; [unrolled: 1-line block ×3, first 2 shown]
	v_mul_lo_u32 v12, v3, s1
	v_sub_u32_e32 v12, v1, v12
	v_mad_u64_u32 v[12:13], s[6:7], v3, s5, v[12:13]
	v_add_u32_e32 v14, 0x77, v12
	v_lshl_add_u64 v[40:41], v[14:15], 3, v[8:9]
	v_add_u32_e32 v14, 0xee, v12
	v_lshl_add_u64 v[44:45], v[14:15], 3, v[8:9]
	v_add_u32_e32 v14, 0x165, v12
	v_mov_b32_e32 v13, v15
	v_lshl_add_u64 v[50:51], v[14:15], 3, v[8:9]
	v_add_u32_e32 v14, 0x1dc, v12
	v_lshl_add_u64 v[32:33], v[12:13], 3, v[8:9]
	v_lshl_add_u64 v[12:13], v[14:15], 3, v[8:9]
	v_mov_b32_e32 v14, v27
	v_mov_b32_e32 v22, v27
	;; [unrolled: 1-line block ×3, first 2 shown]
	global_load_dwordx4 v[26:29], v[58:59], off offset:912
	global_load_dwordx4 v[64:67], v[58:59], off offset:896
	s_waitcnt vmcnt(7)
	v_mov_b32_e32 v54, v75
	v_mov_b32_e32 v55, v74
	v_pk_mul_f32 v[54:55], v[24:25], v[54:55] op_sel_hi:[0,1]
	v_pk_fma_f32 v[58:59], v[14:15], v[74:75], v[54:55] neg_lo:[0,0,1] neg_hi:[0,0,1]
	v_pk_fma_f32 v[54:55], v[22:23], v[74:75], v[54:55] op_sel_hi:[0,1,1]
	v_mov_b32_e32 v59, v55
	v_pk_mul_f32 v[54:55], v[48:49], v[60:61] op_sel:[0,1] op_sel_hi:[0,0]
	v_pk_fma_f32 v[68:69], v[20:21], v[60:61], v[54:55] neg_lo:[0,0,1] neg_hi:[0,0,1]
	v_pk_fma_f32 v[54:55], v[20:21], v[60:61], v[54:55] op_sel_hi:[0,1,1]
	v_mov_b32_e32 v69, v55
	v_pk_mul_f32 v[54:55], v[42:43], v[72:73] op_sel:[0,1] op_sel_hi:[0,0]
	v_pk_fma_f32 v[60:61], v[18:19], v[72:73], v[54:55] neg_lo:[0,0,1] neg_hi:[0,0,1]
	v_pk_fma_f32 v[54:55], v[18:19], v[72:73], v[54:55] op_sel_hi:[0,1,1]
	v_mov_b32_e32 v14, v25
	v_mov_b32_e32 v18, v25
	;; [unrolled: 1-line block ×5, first 2 shown]
	v_pk_mul_f32 v[24:25], v[20:21], v[24:25] op_sel_hi:[0,1]
	v_mov_b32_e32 v61, v55
	v_pk_fma_f32 v[54:55], v[14:15], v[62:63], v[24:25] neg_lo:[0,0,1] neg_hi:[0,0,1]
	v_pk_fma_f32 v[24:25], v[18:19], v[62:63], v[24:25] op_sel_hi:[0,1,1]
	v_mov_b32_e32 v55, v25
	v_pk_add_f32 v[24:25], v[60:61], v[58:59] neg_lo:[0,1] neg_hi:[0,1]
	v_pk_add_f32 v[56:57], v[54:55], v[68:69] neg_lo:[0,1] neg_hi:[0,1]
	v_mov_b32_e32 v52, v23
	v_pk_add_f32 v[24:25], v[24:25], v[56:57]
	v_pk_add_f32 v[56:57], v[58:59], v[68:69]
	v_pk_add_f32 v[70:71], v[58:59], v[68:69] neg_lo:[0,1] neg_hi:[0,1]
	v_pk_fma_f32 v[22:23], v[56:57], 0.5, v[52:53] op_sel_hi:[1,0,1] neg_lo:[1,0,0] neg_hi:[1,0,0]
	v_pk_add_f32 v[56:57], v[60:61], v[54:55] neg_lo:[0,1] neg_hi:[0,1]
	v_pk_add_f32 v[74:75], v[52:53], v[60:61]
	v_pk_fma_f32 v[62:63], v[56:57], s[0:1], v[22:23] op_sel:[1,0,0] op_sel_hi:[0,0,1] neg_lo:[1,0,0] neg_hi:[1,0,0]
	v_pk_fma_f32 v[22:23], v[56:57], s[0:1], v[22:23] op_sel:[1,0,0] op_sel_hi:[0,0,1]
	v_pk_fma_f32 v[22:23], v[70:71], s[4:5], v[22:23] op_sel:[1,0,0] op_sel_hi:[0,0,1]
	v_pk_fma_f32 v[62:63], v[70:71], s[4:5], v[62:63] op_sel:[1,0,0] op_sel_hi:[0,0,1] neg_lo:[1,0,0] neg_hi:[1,0,0]
	v_mov_b32_e32 v73, v23
	v_mov_b32_e32 v23, v63
	;; [unrolled: 1-line block ×3, first 2 shown]
	v_pk_fma_f32 v[22:23], v[24:25], s[2:3], v[22:23] op_sel_hi:[1,0,1]
	v_pk_fma_f32 v[72:73], v[24:25], s[2:3], v[72:73] op_sel_hi:[1,0,1]
	v_pk_add_f32 v[74:75], v[74:75], v[58:59]
	global_store_dwordx2 v[40:41], v[22:23], off
	v_pk_add_f32 v[22:23], v[58:59], v[60:61] neg_lo:[0,1] neg_hi:[0,1]
	v_pk_add_f32 v[24:25], v[68:69], v[54:55] neg_lo:[0,1] neg_hi:[0,1]
	v_pk_add_f32 v[74:75], v[74:75], v[68:69]
	v_pk_add_f32 v[22:23], v[22:23], v[24:25]
	;; [unrolled: 1-line block ×4, first 2 shown]
	v_pk_fma_f32 v[24:25], v[24:25], 0.5, v[52:53] op_sel_hi:[1,0,1] neg_lo:[1,0,0] neg_hi:[1,0,0]
	global_store_dwordx2 v[32:33], v[74:75], off
	v_pk_fma_f32 v[32:33], v[70:71], s[0:1], v[24:25] op_sel:[1,0,0] op_sel_hi:[0,0,1]
	v_pk_fma_f32 v[24:25], v[70:71], s[0:1], v[24:25] op_sel:[1,0,0] op_sel_hi:[0,0,1] neg_lo:[1,0,0] neg_hi:[1,0,0]
	v_pk_fma_f32 v[24:25], v[56:57], s[4:5], v[24:25] op_sel:[1,0,0] op_sel_hi:[0,0,1]
	v_pk_fma_f32 v[32:33], v[56:57], s[4:5], v[32:33] op_sel:[1,0,0] op_sel_hi:[0,0,1] neg_lo:[1,0,0] neg_hi:[1,0,0]
	v_add_u32_e32 v1, 0x55, v122
	v_mov_b32_e32 v40, v32
	v_mov_b32_e32 v41, v25
	;; [unrolled: 1-line block ×3, first 2 shown]
	v_mul_hi_u32 v3, v1, s3
	v_pk_fma_f32 v[40:41], v[22:23], s[2:3], v[40:41] op_sel_hi:[1,0,1]
	v_pk_fma_f32 v[22:23], v[22:23], s[2:3], v[24:25] op_sel_hi:[1,0,1]
	v_lshrrev_b32_e32 v3, 5, v3
	global_store_dwordx2 v[44:45], v[22:23], off
	global_store_dwordx2 v[50:51], v[40:41], off
	global_store_dwordx2 v[12:13], v[72:73], off
	v_mul_lo_u32 v12, v3, s1
	v_sub_u32_e32 v12, v1, v12
	v_mad_u64_u32 v[12:13], s[6:7], v3, s5, v[12:13]
	v_add_u32_e32 v14, 0x77, v12
	v_lshl_add_u64 v[32:33], v[14:15], 3, v[8:9]
	v_add_u32_e32 v14, 0xee, v12
	v_lshl_add_u64 v[40:41], v[14:15], 3, v[8:9]
	v_add_u32_e32 v14, 0x165, v12
	v_mov_b32_e32 v13, v15
	v_lshl_add_u64 v[44:45], v[14:15], 3, v[8:9]
	v_add_u32_e32 v14, 0x1dc, v12
	v_lshl_add_u64 v[24:25], v[12:13], 3, v[8:9]
	v_lshl_add_u64 v[12:13], v[14:15], 3, v[8:9]
	v_mov_b32_e32 v14, v21
	s_waitcnt vmcnt(5)
	v_mov_b32_e32 v22, v67
	v_mov_b32_e32 v23, v66
	v_pk_mul_f32 v[22:23], v[38:39], v[22:23] op_sel_hi:[0,1]
	v_pk_fma_f32 v[54:55], v[16:17], v[66:67], v[22:23] neg_lo:[0,0,1] neg_hi:[0,0,1]
	v_pk_fma_f32 v[22:23], v[16:17], v[66:67], v[22:23] op_sel_hi:[0,1,1]
	v_mov_b32_e32 v55, v23
	v_mov_b32_e32 v16, v21
	global_load_dwordx4 v[20:23], v[46:47], off offset:912
	global_load_dwordx4 v[50:53], v[46:47], off offset:896
	v_mov_b32_e32 v18, v49
	v_pk_mul_f32 v[46:47], v[18:19], v[26:27] op_sel:[0,1] op_sel_hi:[0,0]
	v_mov_b32_e32 v18, v43
	v_pk_fma_f32 v[48:49], v[14:15], v[26:27], v[46:47] neg_lo:[0,0,1] neg_hi:[0,0,1]
	v_pk_fma_f32 v[26:27], v[16:17], v[26:27], v[46:47] op_sel_hi:[0,1,1]
	v_mov_b32_e32 v14, v19
	v_mov_b32_e32 v16, v19
	v_pk_mul_f32 v[18:19], v[18:19], v[64:65] op_sel:[0,1] op_sel_hi:[0,0]
	v_mov_b32_e32 v49, v27
	v_pk_fma_f32 v[26:27], v[14:15], v[64:65], v[18:19] neg_lo:[0,0,1] neg_hi:[0,0,1]
	v_pk_fma_f32 v[18:19], v[16:17], v[64:65], v[18:19] op_sel_hi:[0,1,1]
	v_mov_b32_e32 v27, v19
	v_mov_b32_e32 v18, v29
	;; [unrolled: 1-line block ×3, first 2 shown]
	v_pk_mul_f32 v[18:19], v[34:35], v[18:19] op_sel_hi:[0,1]
	v_pk_fma_f32 v[42:43], v[6:7], v[28:29], v[18:19] neg_lo:[0,0,1] neg_hi:[0,0,1]
	v_pk_fma_f32 v[18:19], v[6:7], v[28:29], v[18:19] op_sel_hi:[0,1,1]
	v_mov_b32_e32 v43, v19
	v_pk_add_f32 v[18:19], v[26:27], v[54:55] neg_lo:[0,1] neg_hi:[0,1]
	v_pk_add_f32 v[28:29], v[42:43], v[48:49] neg_lo:[0,1] neg_hi:[0,1]
	v_mov_b32_e32 v46, v4
	v_pk_add_f32 v[18:19], v[18:19], v[28:29]
	v_pk_add_f32 v[28:29], v[54:55], v[48:49]
	v_mov_b32_e32 v47, v10
	v_pk_fma_f32 v[28:29], v[28:29], 0.5, v[46:47] op_sel_hi:[1,0,1] neg_lo:[1,0,0] neg_hi:[1,0,0]
	v_pk_add_f32 v[56:57], v[26:27], v[42:43] neg_lo:[0,1] neg_hi:[0,1]
	v_pk_add_f32 v[60:61], v[54:55], v[48:49] neg_lo:[0,1] neg_hi:[0,1]
	v_pk_fma_f32 v[58:59], v[56:57], s[0:1], v[28:29] op_sel:[1,0,0] op_sel_hi:[0,0,1] neg_lo:[1,0,0] neg_hi:[1,0,0]
	v_pk_fma_f32 v[28:29], v[56:57], s[0:1], v[28:29] op_sel:[1,0,0] op_sel_hi:[0,0,1]
	v_pk_add_f32 v[64:65], v[46:47], v[26:27]
	v_pk_fma_f32 v[28:29], v[60:61], s[4:5], v[28:29] op_sel:[1,0,0] op_sel_hi:[0,0,1]
	v_pk_fma_f32 v[58:59], v[60:61], s[4:5], v[58:59] op_sel:[1,0,0] op_sel_hi:[0,0,1] neg_lo:[1,0,0] neg_hi:[1,0,0]
	v_pk_add_f32 v[64:65], v[64:65], v[54:55]
	v_mov_b32_e32 v62, v58
	v_mov_b32_e32 v63, v29
	v_pk_add_f32 v[64:65], v[64:65], v[48:49]
	v_mov_b32_e32 v29, v59
	v_pk_fma_f32 v[62:63], v[18:19], s[2:3], v[62:63] op_sel_hi:[1,0,1]
	v_pk_add_f32 v[64:65], v[42:43], v[64:65]
	v_pk_fma_f32 v[18:19], v[18:19], s[2:3], v[28:29] op_sel_hi:[1,0,1]
	global_store_dwordx2 v[24:25], v[64:65], off
	global_store_dwordx2 v[32:33], v[18:19], off
	v_pk_add_f32 v[18:19], v[54:55], v[26:27] neg_lo:[0,1] neg_hi:[0,1]
	v_pk_add_f32 v[24:25], v[48:49], v[42:43] neg_lo:[0,1] neg_hi:[0,1]
	v_add_u32_e32 v1, 0x66, v122
	v_pk_add_f32 v[18:19], v[18:19], v[24:25]
	v_pk_add_f32 v[24:25], v[26:27], v[42:43]
	v_mul_hi_u32 v3, v1, s3
	v_pk_fma_f32 v[24:25], v[24:25], 0.5, v[46:47] op_sel_hi:[1,0,1] neg_lo:[1,0,0] neg_hi:[1,0,0]
	v_lshrrev_b32_e32 v3, 5, v3
	v_pk_fma_f32 v[26:27], v[60:61], s[0:1], v[24:25] op_sel:[1,0,0] op_sel_hi:[0,0,1]
	v_pk_fma_f32 v[24:25], v[60:61], s[0:1], v[24:25] op_sel:[1,0,0] op_sel_hi:[0,0,1] neg_lo:[1,0,0] neg_hi:[1,0,0]
	v_pk_fma_f32 v[24:25], v[56:57], s[4:5], v[24:25] op_sel:[1,0,0] op_sel_hi:[0,0,1]
	v_pk_fma_f32 v[26:27], v[56:57], s[4:5], v[26:27] op_sel:[1,0,0] op_sel_hi:[0,0,1] neg_lo:[1,0,0] neg_hi:[1,0,0]
	v_mov_b32_e32 v28, v26
	v_mov_b32_e32 v29, v25
	;; [unrolled: 1-line block ×3, first 2 shown]
	v_mul_lo_u32 v4, v3, s1
	v_pk_fma_f32 v[28:29], v[18:19], s[2:3], v[28:29] op_sel_hi:[1,0,1]
	v_pk_fma_f32 v[18:19], v[18:19], s[2:3], v[24:25] op_sel_hi:[1,0,1]
	v_sub_u32_e32 v4, v1, v4
	global_store_dwordx2 v[40:41], v[18:19], off
	global_store_dwordx2 v[44:45], v[28:29], off
	;; [unrolled: 1-line block ×3, first 2 shown]
	v_mad_u64_u32 v[12:13], s[6:7], v3, s5, v[4:5]
	v_add_u32_e32 v14, 0x77, v12
	v_lshl_add_u64 v[24:25], v[14:15], 3, v[8:9]
	v_add_u32_e32 v14, 0xee, v12
	v_mov_b32_e32 v13, v15
	v_lshl_add_u64 v[26:27], v[14:15], 3, v[8:9]
	v_add_u32_e32 v14, 0x165, v12
	v_lshl_add_u64 v[18:19], v[12:13], 3, v[8:9]
	v_lshl_add_u64 v[28:29], v[14:15], 3, v[8:9]
	v_add_u32_e32 v14, 0x1dc, v12
	v_mov_b32_e32 v10, v39
	v_mov_b32_e32 v4, v17
	v_mov_b32_e32 v6, v17
	v_lshl_add_u64 v[8:9], v[14:15], 3, v[8:9]
	s_waitcnt vmcnt(5)
	v_mov_b32_e32 v12, v53
	v_mov_b32_e32 v13, v52
	v_pk_mul_f32 v[12:13], v[10:11], v[12:13] op_sel_hi:[0,1]
	v_pk_fma_f32 v[14:15], v[4:5], v[52:53], v[12:13] neg_lo:[0,0,1] neg_hi:[0,0,1]
	v_pk_fma_f32 v[12:13], v[6:7], v[52:53], v[12:13] op_sel_hi:[0,1,1]
	v_mov_b32_e32 v15, v13
	v_pk_mul_f32 v[12:13], v[36:37], v[20:21] op_sel:[0,1] op_sel_hi:[0,0]
	v_pk_fma_f32 v[16:17], v[2:3], v[20:21], v[12:13] neg_lo:[0,0,1] neg_hi:[0,0,1]
	v_pk_fma_f32 v[2:3], v[2:3], v[20:21], v[12:13] op_sel_hi:[0,1,1]
	v_mov_b32_e32 v17, v3
	v_pk_mul_f32 v[2:3], v[30:31], v[50:51] op_sel:[0,1] op_sel_hi:[0,0]
	v_pk_fma_f32 v[12:13], v[0:1], v[50:51], v[2:3] neg_lo:[0,0,1] neg_hi:[0,0,1]
	v_pk_fma_f32 v[0:1], v[0:1], v[50:51], v[2:3] op_sel_hi:[0,1,1]
	v_mov_b32_e32 v0, v7
	v_mov_b32_e32 v2, v7
	v_mov_b32_e32 v4, v35
	v_mov_b32_e32 v6, v23
	v_mov_b32_e32 v7, v22
	v_pk_mul_f32 v[6:7], v[4:5], v[6:7] op_sel_hi:[0,1]
	v_mov_b32_e32 v13, v1
	v_pk_fma_f32 v[0:1], v[0:1], v[22:23], v[6:7] neg_lo:[0,0,1] neg_hi:[0,0,1]
	v_pk_fma_f32 v[2:3], v[2:3], v[22:23], v[6:7] op_sel_hi:[0,1,1]
	v_mov_b32_e32 v1, v3
	v_pk_add_f32 v[2:3], v[12:13], v[14:15] neg_lo:[0,1] neg_hi:[0,1]
	v_pk_add_f32 v[6:7], v[0:1], v[16:17] neg_lo:[0,1] neg_hi:[0,1]
	v_mov_b32_e32 v10, v5
	v_pk_add_f32 v[2:3], v[2:3], v[6:7]
	v_pk_add_f32 v[6:7], v[14:15], v[16:17]
	v_pk_add_f32 v[22:23], v[14:15], v[16:17] neg_lo:[0,1] neg_hi:[0,1]
	v_pk_fma_f32 v[4:5], v[6:7], 0.5, v[10:11] op_sel_hi:[1,0,1] neg_lo:[1,0,0] neg_hi:[1,0,0]
	v_pk_add_f32 v[6:7], v[12:13], v[0:1] neg_lo:[0,1] neg_hi:[0,1]
	v_pk_add_f32 v[32:33], v[10:11], v[12:13]
	v_pk_fma_f32 v[20:21], v[6:7], s[0:1], v[4:5] op_sel:[1,0,0] op_sel_hi:[0,0,1] neg_lo:[1,0,0] neg_hi:[1,0,0]
	v_pk_fma_f32 v[4:5], v[6:7], s[0:1], v[4:5] op_sel:[1,0,0] op_sel_hi:[0,0,1]
	v_pk_fma_f32 v[4:5], v[22:23], s[4:5], v[4:5] op_sel:[1,0,0] op_sel_hi:[0,0,1]
	v_pk_fma_f32 v[20:21], v[22:23], s[4:5], v[20:21] op_sel:[1,0,0] op_sel_hi:[0,0,1] neg_lo:[1,0,0] neg_hi:[1,0,0]
	v_mov_b32_e32 v30, v20
	v_mov_b32_e32 v31, v5
	;; [unrolled: 1-line block ×3, first 2 shown]
	v_pk_fma_f32 v[30:31], v[2:3], s[2:3], v[30:31] op_sel_hi:[1,0,1]
	v_pk_add_f32 v[32:33], v[32:33], v[14:15]
	v_pk_fma_f32 v[2:3], v[2:3], s[2:3], v[4:5] op_sel_hi:[1,0,1]
	v_pk_add_f32 v[32:33], v[32:33], v[16:17]
	global_store_dwordx2 v[24:25], v[2:3], off
	v_pk_add_f32 v[2:3], v[12:13], v[0:1]
	v_pk_add_f32 v[32:33], v[0:1], v[32:33]
	v_pk_fma_f32 v[2:3], v[2:3], 0.5, v[10:11] op_sel_hi:[1,0,1] neg_lo:[1,0,0] neg_hi:[1,0,0]
	v_pk_add_f32 v[4:5], v[14:15], v[12:13] neg_lo:[0,1] neg_hi:[0,1]
	v_pk_add_f32 v[0:1], v[16:17], v[0:1] neg_lo:[0,1] neg_hi:[0,1]
	global_store_dwordx2 v[18:19], v[32:33], off
	v_pk_add_f32 v[0:1], v[4:5], v[0:1]
	v_pk_fma_f32 v[4:5], v[22:23], s[0:1], v[2:3] op_sel:[1,0,0] op_sel_hi:[0,0,1]
	v_pk_fma_f32 v[2:3], v[22:23], s[0:1], v[2:3] op_sel:[1,0,0] op_sel_hi:[0,0,1] neg_lo:[1,0,0] neg_hi:[1,0,0]
	v_pk_fma_f32 v[2:3], v[6:7], s[4:5], v[2:3] op_sel:[1,0,0] op_sel_hi:[0,0,1]
	v_pk_fma_f32 v[4:5], v[6:7], s[4:5], v[4:5] op_sel:[1,0,0] op_sel_hi:[0,0,1] neg_lo:[1,0,0] neg_hi:[1,0,0]
	v_mov_b32_e32 v6, v4
	v_mov_b32_e32 v7, v3
	v_mov_b32_e32 v3, v5
	v_pk_fma_f32 v[6:7], v[0:1], s[2:3], v[6:7] op_sel_hi:[1,0,1]
	v_pk_fma_f32 v[0:1], v[0:1], s[2:3], v[2:3] op_sel_hi:[1,0,1]
	global_store_dwordx2 v[26:27], v[0:1], off
	global_store_dwordx2 v[28:29], v[6:7], off
	;; [unrolled: 1-line block ×3, first 2 shown]
.LBB0_22:
	s_endpgm
	.section	.rodata,"a",@progbits
	.p2align	6, 0x0
	.amdhsa_kernel fft_rtc_fwd_len595_factors_7_17_5_wgs_51_tpt_17_halfLds_sp_op_CI_CI_unitstride_sbrr_dirReg
		.amdhsa_group_segment_fixed_size 0
		.amdhsa_private_segment_fixed_size 0
		.amdhsa_kernarg_size 104
		.amdhsa_user_sgpr_count 2
		.amdhsa_user_sgpr_dispatch_ptr 0
		.amdhsa_user_sgpr_queue_ptr 0
		.amdhsa_user_sgpr_kernarg_segment_ptr 1
		.amdhsa_user_sgpr_dispatch_id 0
		.amdhsa_user_sgpr_kernarg_preload_length 0
		.amdhsa_user_sgpr_kernarg_preload_offset 0
		.amdhsa_user_sgpr_private_segment_size 0
		.amdhsa_uses_dynamic_stack 0
		.amdhsa_enable_private_segment 0
		.amdhsa_system_sgpr_workgroup_id_x 1
		.amdhsa_system_sgpr_workgroup_id_y 0
		.amdhsa_system_sgpr_workgroup_id_z 0
		.amdhsa_system_sgpr_workgroup_info 0
		.amdhsa_system_vgpr_workitem_id 0
		.amdhsa_next_free_vgpr 158
		.amdhsa_next_free_sgpr 28
		.amdhsa_accum_offset 160
		.amdhsa_reserve_vcc 1
		.amdhsa_float_round_mode_32 0
		.amdhsa_float_round_mode_16_64 0
		.amdhsa_float_denorm_mode_32 3
		.amdhsa_float_denorm_mode_16_64 3
		.amdhsa_dx10_clamp 1
		.amdhsa_ieee_mode 1
		.amdhsa_fp16_overflow 0
		.amdhsa_tg_split 0
		.amdhsa_exception_fp_ieee_invalid_op 0
		.amdhsa_exception_fp_denorm_src 0
		.amdhsa_exception_fp_ieee_div_zero 0
		.amdhsa_exception_fp_ieee_overflow 0
		.amdhsa_exception_fp_ieee_underflow 0
		.amdhsa_exception_fp_ieee_inexact 0
		.amdhsa_exception_int_div_zero 0
	.end_amdhsa_kernel
	.text
.Lfunc_end0:
	.size	fft_rtc_fwd_len595_factors_7_17_5_wgs_51_tpt_17_halfLds_sp_op_CI_CI_unitstride_sbrr_dirReg, .Lfunc_end0-fft_rtc_fwd_len595_factors_7_17_5_wgs_51_tpt_17_halfLds_sp_op_CI_CI_unitstride_sbrr_dirReg
                                        ; -- End function
	.section	.AMDGPU.csdata,"",@progbits
; Kernel info:
; codeLenInByte = 25112
; NumSgprs: 34
; NumVgprs: 158
; NumAgprs: 0
; TotalNumVgprs: 158
; ScratchSize: 0
; MemoryBound: 0
; FloatMode: 240
; IeeeMode: 1
; LDSByteSize: 0 bytes/workgroup (compile time only)
; SGPRBlocks: 4
; VGPRBlocks: 19
; NumSGPRsForWavesPerEU: 34
; NumVGPRsForWavesPerEU: 158
; AccumOffset: 160
; Occupancy: 3
; WaveLimiterHint : 1
; COMPUTE_PGM_RSRC2:SCRATCH_EN: 0
; COMPUTE_PGM_RSRC2:USER_SGPR: 2
; COMPUTE_PGM_RSRC2:TRAP_HANDLER: 0
; COMPUTE_PGM_RSRC2:TGID_X_EN: 1
; COMPUTE_PGM_RSRC2:TGID_Y_EN: 0
; COMPUTE_PGM_RSRC2:TGID_Z_EN: 0
; COMPUTE_PGM_RSRC2:TIDIG_COMP_CNT: 0
; COMPUTE_PGM_RSRC3_GFX90A:ACCUM_OFFSET: 39
; COMPUTE_PGM_RSRC3_GFX90A:TG_SPLIT: 0
	.text
	.p2alignl 6, 3212836864
	.fill 256, 4, 3212836864
	.type	__hip_cuid_83570de76efd8d12,@object ; @__hip_cuid_83570de76efd8d12
	.section	.bss,"aw",@nobits
	.globl	__hip_cuid_83570de76efd8d12
__hip_cuid_83570de76efd8d12:
	.byte	0                               ; 0x0
	.size	__hip_cuid_83570de76efd8d12, 1

	.ident	"AMD clang version 19.0.0git (https://github.com/RadeonOpenCompute/llvm-project roc-6.4.0 25133 c7fe45cf4b819c5991fe208aaa96edf142730f1d)"
	.section	".note.GNU-stack","",@progbits
	.addrsig
	.addrsig_sym __hip_cuid_83570de76efd8d12
	.amdgpu_metadata
---
amdhsa.kernels:
  - .agpr_count:     0
    .args:
      - .actual_access:  read_only
        .address_space:  global
        .offset:         0
        .size:           8
        .value_kind:     global_buffer
      - .offset:         8
        .size:           8
        .value_kind:     by_value
      - .actual_access:  read_only
        .address_space:  global
        .offset:         16
        .size:           8
        .value_kind:     global_buffer
      - .actual_access:  read_only
        .address_space:  global
        .offset:         24
        .size:           8
        .value_kind:     global_buffer
      - .actual_access:  read_only
        .address_space:  global
        .offset:         32
        .size:           8
        .value_kind:     global_buffer
      - .offset:         40
        .size:           8
        .value_kind:     by_value
      - .actual_access:  read_only
        .address_space:  global
        .offset:         48
        .size:           8
        .value_kind:     global_buffer
      - .actual_access:  read_only
        .address_space:  global
        .offset:         56
        .size:           8
        .value_kind:     global_buffer
      - .offset:         64
        .size:           4
        .value_kind:     by_value
      - .actual_access:  read_only
        .address_space:  global
        .offset:         72
        .size:           8
        .value_kind:     global_buffer
      - .actual_access:  read_only
        .address_space:  global
        .offset:         80
        .size:           8
        .value_kind:     global_buffer
      - .actual_access:  read_only
        .address_space:  global
        .offset:         88
        .size:           8
        .value_kind:     global_buffer
      - .actual_access:  write_only
        .address_space:  global
        .offset:         96
        .size:           8
        .value_kind:     global_buffer
    .group_segment_fixed_size: 0
    .kernarg_segment_align: 8
    .kernarg_segment_size: 104
    .language:       OpenCL C
    .language_version:
      - 2
      - 0
    .max_flat_workgroup_size: 51
    .name:           fft_rtc_fwd_len595_factors_7_17_5_wgs_51_tpt_17_halfLds_sp_op_CI_CI_unitstride_sbrr_dirReg
    .private_segment_fixed_size: 0
    .sgpr_count:     34
    .sgpr_spill_count: 0
    .symbol:         fft_rtc_fwd_len595_factors_7_17_5_wgs_51_tpt_17_halfLds_sp_op_CI_CI_unitstride_sbrr_dirReg.kd
    .uniform_work_group_size: 1
    .uses_dynamic_stack: false
    .vgpr_count:     158
    .vgpr_spill_count: 0
    .wavefront_size: 64
amdhsa.target:   amdgcn-amd-amdhsa--gfx950
amdhsa.version:
  - 1
  - 2
...

	.end_amdgpu_metadata
